;; amdgpu-corpus repo=ROCm/rocFFT kind=compiled arch=gfx1030 opt=O3
	.text
	.amdgcn_target "amdgcn-amd-amdhsa--gfx1030"
	.amdhsa_code_object_version 6
	.protected	fft_rtc_fwd_len425_factors_17_5_5_wgs_51_tpt_17_halfLds_sp_ip_CI_sbrr_dirReg ; -- Begin function fft_rtc_fwd_len425_factors_17_5_5_wgs_51_tpt_17_halfLds_sp_ip_CI_sbrr_dirReg
	.globl	fft_rtc_fwd_len425_factors_17_5_5_wgs_51_tpt_17_halfLds_sp_ip_CI_sbrr_dirReg
	.p2align	8
	.type	fft_rtc_fwd_len425_factors_17_5_5_wgs_51_tpt_17_halfLds_sp_ip_CI_sbrr_dirReg,@function
fft_rtc_fwd_len425_factors_17_5_5_wgs_51_tpt_17_halfLds_sp_ip_CI_sbrr_dirReg: ; @fft_rtc_fwd_len425_factors_17_5_5_wgs_51_tpt_17_halfLds_sp_ip_CI_sbrr_dirReg
; %bb.0:
	s_clause 0x1
	s_load_dwordx2 s[14:15], s[4:5], 0x18
	s_load_dwordx4 s[8:11], s[4:5], 0x0
	v_mul_u32_u24_e32 v1, 0xf10, v0
	v_mov_b32_e32 v3, 0
	s_load_dwordx2 s[12:13], s[4:5], 0x50
	s_waitcnt lgkmcnt(0)
	s_load_dwordx2 s[2:3], s[14:15], 0x0
	v_lshrrev_b32_e32 v1, 16, v1
	v_cmp_lt_u64_e64 s0, s[10:11], 2
	v_mad_u64_u32 v[70:71], null, s6, 3, v[1:2]
	v_mov_b32_e32 v71, v3
	v_mov_b32_e32 v1, 0
	;; [unrolled: 1-line block ×3, first 2 shown]
	s_and_b32 vcc_lo, exec_lo, s0
	v_mov_b32_e32 v7, v70
	v_mov_b32_e32 v8, v71
	s_cbranch_vccnz .LBB0_8
; %bb.1:
	s_load_dwordx2 s[0:1], s[4:5], 0x10
	v_mov_b32_e32 v1, 0
	v_mov_b32_e32 v5, v70
	s_add_u32 s6, s14, 8
	v_mov_b32_e32 v2, 0
	v_mov_b32_e32 v6, v71
	s_addc_u32 s7, s15, 0
	s_mov_b64 s[18:19], 1
	s_waitcnt lgkmcnt(0)
	s_add_u32 s16, s0, 8
	s_addc_u32 s17, s1, 0
.LBB0_2:                                ; =>This Inner Loop Header: Depth=1
	s_load_dwordx2 s[20:21], s[16:17], 0x0
                                        ; implicit-def: $vgpr7_vgpr8
	s_mov_b32 s0, exec_lo
	s_waitcnt lgkmcnt(0)
	v_or_b32_e32 v4, s21, v6
	v_cmpx_ne_u64_e32 0, v[3:4]
	s_xor_b32 s1, exec_lo, s0
	s_cbranch_execz .LBB0_4
; %bb.3:                                ;   in Loop: Header=BB0_2 Depth=1
	v_cvt_f32_u32_e32 v4, s20
	v_cvt_f32_u32_e32 v7, s21
	s_sub_u32 s0, 0, s20
	s_subb_u32 s22, 0, s21
	v_fmac_f32_e32 v4, 0x4f800000, v7
	v_rcp_f32_e32 v4, v4
	v_mul_f32_e32 v4, 0x5f7ffffc, v4
	v_mul_f32_e32 v7, 0x2f800000, v4
	v_trunc_f32_e32 v7, v7
	v_fmac_f32_e32 v4, 0xcf800000, v7
	v_cvt_u32_f32_e32 v7, v7
	v_cvt_u32_f32_e32 v4, v4
	v_mul_lo_u32 v8, s0, v7
	v_mul_hi_u32 v9, s0, v4
	v_mul_lo_u32 v10, s22, v4
	v_add_nc_u32_e32 v8, v9, v8
	v_mul_lo_u32 v9, s0, v4
	v_add_nc_u32_e32 v8, v8, v10
	v_mul_hi_u32 v10, v4, v9
	v_mul_lo_u32 v11, v4, v8
	v_mul_hi_u32 v12, v4, v8
	v_mul_hi_u32 v13, v7, v9
	v_mul_lo_u32 v9, v7, v9
	v_mul_hi_u32 v14, v7, v8
	v_mul_lo_u32 v8, v7, v8
	v_add_co_u32 v10, vcc_lo, v10, v11
	v_add_co_ci_u32_e32 v11, vcc_lo, 0, v12, vcc_lo
	v_add_co_u32 v9, vcc_lo, v10, v9
	v_add_co_ci_u32_e32 v9, vcc_lo, v11, v13, vcc_lo
	v_add_co_ci_u32_e32 v10, vcc_lo, 0, v14, vcc_lo
	v_add_co_u32 v8, vcc_lo, v9, v8
	v_add_co_ci_u32_e32 v9, vcc_lo, 0, v10, vcc_lo
	v_add_co_u32 v4, vcc_lo, v4, v8
	v_add_co_ci_u32_e32 v7, vcc_lo, v7, v9, vcc_lo
	v_mul_hi_u32 v8, s0, v4
	v_mul_lo_u32 v10, s22, v4
	v_mul_lo_u32 v9, s0, v7
	v_add_nc_u32_e32 v8, v8, v9
	v_mul_lo_u32 v9, s0, v4
	v_add_nc_u32_e32 v8, v8, v10
	v_mul_hi_u32 v10, v4, v9
	v_mul_lo_u32 v11, v4, v8
	v_mul_hi_u32 v12, v4, v8
	v_mul_hi_u32 v13, v7, v9
	v_mul_lo_u32 v9, v7, v9
	v_mul_hi_u32 v14, v7, v8
	v_mul_lo_u32 v8, v7, v8
	v_add_co_u32 v10, vcc_lo, v10, v11
	v_add_co_ci_u32_e32 v11, vcc_lo, 0, v12, vcc_lo
	v_add_co_u32 v9, vcc_lo, v10, v9
	v_add_co_ci_u32_e32 v9, vcc_lo, v11, v13, vcc_lo
	v_add_co_ci_u32_e32 v10, vcc_lo, 0, v14, vcc_lo
	v_add_co_u32 v8, vcc_lo, v9, v8
	v_add_co_ci_u32_e32 v9, vcc_lo, 0, v10, vcc_lo
	v_add_co_u32 v4, vcc_lo, v4, v8
	v_add_co_ci_u32_e32 v11, vcc_lo, v7, v9, vcc_lo
	v_mul_hi_u32 v13, v5, v4
	v_mad_u64_u32 v[9:10], null, v6, v4, 0
	v_mad_u64_u32 v[7:8], null, v5, v11, 0
	v_mad_u64_u32 v[11:12], null, v6, v11, 0
	v_add_co_u32 v4, vcc_lo, v13, v7
	v_add_co_ci_u32_e32 v7, vcc_lo, 0, v8, vcc_lo
	v_add_co_u32 v4, vcc_lo, v4, v9
	v_add_co_ci_u32_e32 v4, vcc_lo, v7, v10, vcc_lo
	v_add_co_ci_u32_e32 v7, vcc_lo, 0, v12, vcc_lo
	v_add_co_u32 v4, vcc_lo, v4, v11
	v_add_co_ci_u32_e32 v9, vcc_lo, 0, v7, vcc_lo
	v_mul_lo_u32 v10, s21, v4
	v_mad_u64_u32 v[7:8], null, s20, v4, 0
	v_mul_lo_u32 v11, s20, v9
	v_sub_co_u32 v7, vcc_lo, v5, v7
	v_add3_u32 v8, v8, v11, v10
	v_sub_nc_u32_e32 v10, v6, v8
	v_subrev_co_ci_u32_e64 v10, s0, s21, v10, vcc_lo
	v_add_co_u32 v11, s0, v4, 2
	v_add_co_ci_u32_e64 v12, s0, 0, v9, s0
	v_sub_co_u32 v13, s0, v7, s20
	v_sub_co_ci_u32_e32 v8, vcc_lo, v6, v8, vcc_lo
	v_subrev_co_ci_u32_e64 v10, s0, 0, v10, s0
	v_cmp_le_u32_e32 vcc_lo, s20, v13
	v_cmp_eq_u32_e64 s0, s21, v8
	v_cndmask_b32_e64 v13, 0, -1, vcc_lo
	v_cmp_le_u32_e32 vcc_lo, s21, v10
	v_cndmask_b32_e64 v14, 0, -1, vcc_lo
	v_cmp_le_u32_e32 vcc_lo, s20, v7
	;; [unrolled: 2-line block ×3, first 2 shown]
	v_cndmask_b32_e64 v15, 0, -1, vcc_lo
	v_cmp_eq_u32_e32 vcc_lo, s21, v10
	v_cndmask_b32_e64 v7, v15, v7, s0
	v_cndmask_b32_e32 v10, v14, v13, vcc_lo
	v_add_co_u32 v13, vcc_lo, v4, 1
	v_add_co_ci_u32_e32 v14, vcc_lo, 0, v9, vcc_lo
	v_cmp_ne_u32_e32 vcc_lo, 0, v10
	v_cndmask_b32_e32 v8, v14, v12, vcc_lo
	v_cndmask_b32_e32 v10, v13, v11, vcc_lo
	v_cmp_ne_u32_e32 vcc_lo, 0, v7
	v_cndmask_b32_e32 v8, v9, v8, vcc_lo
	v_cndmask_b32_e32 v7, v4, v10, vcc_lo
.LBB0_4:                                ;   in Loop: Header=BB0_2 Depth=1
	s_andn2_saveexec_b32 s0, s1
	s_cbranch_execz .LBB0_6
; %bb.5:                                ;   in Loop: Header=BB0_2 Depth=1
	v_cvt_f32_u32_e32 v4, s20
	s_sub_i32 s1, 0, s20
	v_rcp_iflag_f32_e32 v4, v4
	v_mul_f32_e32 v4, 0x4f7ffffe, v4
	v_cvt_u32_f32_e32 v4, v4
	v_mul_lo_u32 v7, s1, v4
	v_mul_hi_u32 v7, v4, v7
	v_add_nc_u32_e32 v4, v4, v7
	v_mul_hi_u32 v4, v5, v4
	v_mul_lo_u32 v7, v4, s20
	v_add_nc_u32_e32 v8, 1, v4
	v_sub_nc_u32_e32 v7, v5, v7
	v_subrev_nc_u32_e32 v9, s20, v7
	v_cmp_le_u32_e32 vcc_lo, s20, v7
	v_cndmask_b32_e32 v7, v7, v9, vcc_lo
	v_cndmask_b32_e32 v4, v4, v8, vcc_lo
	v_cmp_le_u32_e32 vcc_lo, s20, v7
	v_add_nc_u32_e32 v8, 1, v4
	v_cndmask_b32_e32 v7, v4, v8, vcc_lo
	v_mov_b32_e32 v8, v3
.LBB0_6:                                ;   in Loop: Header=BB0_2 Depth=1
	s_or_b32 exec_lo, exec_lo, s0
	s_load_dwordx2 s[0:1], s[6:7], 0x0
	v_mul_lo_u32 v4, v8, s20
	v_mul_lo_u32 v11, v7, s21
	v_mad_u64_u32 v[9:10], null, v7, s20, 0
	s_add_u32 s18, s18, 1
	s_addc_u32 s19, s19, 0
	s_add_u32 s6, s6, 8
	s_addc_u32 s7, s7, 0
	s_add_u32 s16, s16, 8
	s_addc_u32 s17, s17, 0
	v_add3_u32 v4, v10, v11, v4
	v_sub_co_u32 v5, vcc_lo, v5, v9
	v_sub_co_ci_u32_e32 v4, vcc_lo, v6, v4, vcc_lo
	s_waitcnt lgkmcnt(0)
	v_mul_lo_u32 v6, s1, v5
	v_mul_lo_u32 v4, s0, v4
	v_mad_u64_u32 v[1:2], null, s0, v5, v[1:2]
	v_cmp_ge_u64_e64 s0, s[18:19], s[10:11]
	s_and_b32 vcc_lo, exec_lo, s0
	v_add3_u32 v2, v6, v2, v4
	s_cbranch_vccnz .LBB0_8
; %bb.7:                                ;   in Loop: Header=BB0_2 Depth=1
	v_mov_b32_e32 v5, v7
	v_mov_b32_e32 v6, v8
	s_branch .LBB0_2
.LBB0_8:
	s_lshl_b64 s[0:1], s[10:11], 3
	v_mul_hi_u32 v3, 0xf0f0f10, v0
	s_add_u32 s0, s14, s0
	s_addc_u32 s1, s15, s1
	v_mov_b32_e32 v15, 0
	s_load_dwordx2 s[0:1], s[0:1], 0x0
	s_load_dwordx2 s[4:5], s[4:5], 0x20
	v_mov_b32_e32 v14, 0
                                        ; implicit-def: $vgpr55
                                        ; implicit-def: $vgpr61
                                        ; implicit-def: $vgpr59
                                        ; implicit-def: $vgpr53
                                        ; implicit-def: $vgpr51
                                        ; implicit-def: $vgpr41
                                        ; implicit-def: $vgpr33
                                        ; implicit-def: $vgpr23
                                        ; implicit-def: $vgpr27
                                        ; implicit-def: $vgpr37
                                        ; implicit-def: $vgpr29
                                        ; implicit-def: $vgpr19
                                        ; implicit-def: $vgpr21
                                        ; implicit-def: $vgpr13
                                        ; implicit-def: $vgpr9
                                        ; implicit-def: $vgpr45
                                        ; implicit-def: $vgpr47
                                        ; implicit-def: $vgpr43
                                        ; implicit-def: $vgpr35
                                        ; implicit-def: $vgpr25
                                        ; implicit-def: $vgpr17
                                        ; implicit-def: $vgpr11
                                        ; implicit-def: $vgpr67
                                        ; implicit-def: $vgpr69
                                        ; implicit-def: $vgpr65
                                        ; implicit-def: $vgpr63
                                        ; implicit-def: $vgpr57
                                        ; implicit-def: $vgpr49
                                        ; implicit-def: $vgpr39
                                        ; implicit-def: $vgpr31
	v_mul_u32_u24_e32 v3, 17, v3
	v_sub_nc_u32_e32 v71, v0, v3
                                        ; implicit-def: $vgpr3
	s_waitcnt lgkmcnt(0)
	v_mul_lo_u32 v4, s0, v8
	v_mul_lo_u32 v5, s1, v7
	v_mad_u64_u32 v[1:2], null, s0, v7, v[1:2]
	v_cmp_gt_u64_e32 vcc_lo, s[4:5], v[7:8]
                                        ; implicit-def: $vgpr7
	v_add3_u32 v2, v5, v2, v4
                                        ; implicit-def: $vgpr5
	v_lshlrev_b64 v[0:1], 3, v[1:2]
	s_and_saveexec_b32 s1, vcc_lo
	s_cbranch_execz .LBB0_12
; %bb.9:
	v_add_nc_u32_e32 v10, 25, v71
	v_add_nc_u32_e32 v11, 50, v71
	v_mad_u64_u32 v[2:3], null, s2, v71, 0
	v_add_nc_u32_e32 v12, 0x4b, v71
	v_mad_u64_u32 v[4:5], null, s2, v10, 0
	v_mad_u64_u32 v[6:7], null, s2, v11, 0
	v_add_nc_u32_e32 v16, 0x64, v71
	v_add_nc_u32_e32 v17, 0x7d, v71
	v_add_co_u32 v25, s0, s12, v0
	v_mad_u64_u32 v[8:9], null, s3, v71, v[3:4]
	v_mov_b32_e32 v3, v5
	v_mov_b32_e32 v5, v7
	v_mad_u64_u32 v[14:15], null, s2, v17, 0
	v_add_co_ci_u32_e64 v35, s0, s13, v1, s0
	v_mad_u64_u32 v[9:10], null, s3, v10, v[3:4]
	v_mov_b32_e32 v3, v8
	v_mad_u64_u32 v[7:8], null, s3, v11, v[5:6]
	v_mad_u64_u32 v[10:11], null, s2, v12, 0
	v_lshlrev_b64 v[2:3], 3, v[2:3]
	v_mov_b32_e32 v5, v9
	v_add_nc_u32_e32 v20, 0xaf, v71
	v_add_nc_u32_e32 v21, 0x15e, v71
	v_lshlrev_b64 v[6:7], 3, v[6:7]
	v_add_nc_u32_e32 v24, 0x177, v71
	v_mov_b32_e32 v8, v11
	v_lshlrev_b64 v[4:5], 3, v[4:5]
	v_add_co_u32 v2, s0, v25, v2
	v_add_co_ci_u32_e64 v3, s0, v35, v3, s0
	v_mad_u64_u32 v[8:9], null, s3, v12, v[8:9]
	v_mad_u64_u32 v[12:13], null, s2, v16, 0
	v_add_co_u32 v4, s0, v25, v4
	v_mov_b32_e32 v9, v15
	v_add_co_ci_u32_e64 v5, s0, v35, v5, s0
	v_mov_b32_e32 v11, v8
	v_mov_b32_e32 v8, v13
	v_add_co_u32 v6, s0, v25, v6
	v_add_co_ci_u32_e64 v7, s0, v35, v7, s0
	v_lshlrev_b64 v[10:11], 3, v[10:11]
	v_mad_u64_u32 v[15:16], null, s3, v16, v[8:9]
	v_mad_u64_u32 v[18:19], null, s2, v20, 0
	s_mov_b32 s4, exec_lo
	v_mad_u64_u32 v[8:9], null, s3, v17, v[9:10]
	v_add_co_u32 v9, s0, v25, v10
	v_add_co_ci_u32_e64 v10, s0, v35, v11, s0
	v_add_nc_u32_e32 v11, 0x96, v71
	v_mov_b32_e32 v13, v15
	v_mov_b32_e32 v15, v8
	s_clause 0x3
	global_load_dwordx2 v[54:55], v[2:3], off
	global_load_dwordx2 v[60:61], v[4:5], off
	;; [unrolled: 1-line block ×4, first 2 shown]
	v_mov_b32_e32 v7, v19
	v_mad_u64_u32 v[16:17], null, s2, v11, 0
	v_lshlrev_b64 v[5:6], 3, v[14:15]
	v_lshlrev_b64 v[2:3], 3, v[12:13]
	v_add_nc_u32_e32 v13, 0xc8, v71
                                        ; implicit-def: $vgpr34
                                        ; implicit-def: $vgpr42
                                        ; implicit-def: $vgpr46
                                        ; implicit-def: $vgpr44
	v_mov_b32_e32 v4, v17
	v_add_co_u32 v2, s0, v25, v2
	v_add_co_ci_u32_e64 v3, s0, v35, v3, s0
	v_mad_u64_u32 v[8:9], null, s3, v11, v[4:5]
	v_add_co_u32 v4, s0, v25, v5
	v_add_co_ci_u32_e64 v5, s0, v35, v6, s0
	v_mad_u64_u32 v[9:10], null, s3, v20, v[7:8]
	v_mad_u64_u32 v[10:11], null, s2, v13, 0
	v_mov_b32_e32 v17, v8
	v_add_nc_u32_e32 v20, 0xe1, v71
	v_mov_b32_e32 v19, v9
	v_lshlrev_b64 v[7:8], 3, v[16:17]
	v_mov_b32_e32 v6, v11
	v_lshlrev_b64 v[11:12], 3, v[18:19]
	v_add_nc_u32_e32 v18, 0xfa, v71
	v_mad_u64_u32 v[13:14], null, s3, v13, v[6:7]
	v_mad_u64_u32 v[14:15], null, s2, v20, 0
	v_add_co_u32 v6, s0, v25, v7
	v_add_co_ci_u32_e64 v7, s0, v35, v8, s0
	v_add_co_u32 v8, s0, v25, v11
	v_add_co_ci_u32_e64 v9, s0, v35, v12, s0
	v_mov_b32_e32 v12, v15
	v_mov_b32_e32 v11, v13
	v_mad_u64_u32 v[16:17], null, s2, v18, 0
	s_clause 0x3
	global_load_dwordx2 v[50:51], v[2:3], off
	global_load_dwordx2 v[40:41], v[4:5], off
	;; [unrolled: 1-line block ×4, first 2 shown]
	v_mad_u64_u32 v[12:13], null, s3, v20, v[12:13]
	v_add_nc_u32_e32 v13, 0x113, v71
	v_lshlrev_b64 v[2:3], 3, v[10:11]
	v_mad_u64_u32 v[19:20], null, s2, v24, 0
	v_mov_b32_e32 v4, v17
	v_mad_u64_u32 v[5:6], null, s2, v13, 0
	v_mov_b32_e32 v15, v12
	v_add_co_u32 v2, s0, v25, v2
	v_add_co_ci_u32_e64 v3, s0, v35, v3, s0
	v_mad_u64_u32 v[7:8], null, s3, v18, v[4:5]
	v_mov_b32_e32 v4, v6
	v_lshlrev_b64 v[8:9], 3, v[14:15]
	v_add_nc_u32_e32 v18, 0x12c, v71
	v_mov_b32_e32 v17, v7
	v_mad_u64_u32 v[6:7], null, s3, v13, v[4:5]
	v_mad_u64_u32 v[10:11], null, s2, v18, 0
	v_add_co_u32 v7, s0, v25, v8
	v_add_co_ci_u32_e64 v8, s0, v35, v9, s0
	v_add_nc_u32_e32 v9, 0x145, v71
	v_lshlrev_b64 v[12:13], 3, v[16:17]
	v_lshlrev_b64 v[5:6], 3, v[5:6]
	v_mov_b32_e32 v4, v11
	v_mad_u64_u32 v[14:15], null, s2, v9, 0
	v_add_co_u32 v12, s0, v25, v12
	v_mad_u64_u32 v[16:17], null, s3, v18, v[4:5]
	v_add_co_ci_u32_e64 v13, s0, v35, v13, s0
	v_mad_u64_u32 v[17:18], null, s2, v21, 0
	v_mov_b32_e32 v4, v15
	v_add_co_u32 v5, s0, v25, v5
	v_mov_b32_e32 v11, v16
	v_add_co_ci_u32_e64 v6, s0, v35, v6, s0
	v_mad_u64_u32 v[15:16], null, s3, v9, v[4:5]
	v_add_nc_u32_e32 v9, 0x190, v71
	v_mov_b32_e32 v4, v18
	s_clause 0x3
	global_load_dwordx2 v[26:27], v[2:3], off
	global_load_dwordx2 v[30:31], v[7:8], off
	;; [unrolled: 1-line block ×4, first 2 shown]
	v_mov_b32_e32 v2, v20
                                        ; implicit-def: $vgpr16
	v_mad_u64_u32 v[36:37], null, s2, v9, 0
	v_mad_u64_u32 v[28:29], null, s3, v21, v[4:5]
	v_lshlrev_b64 v[3:4], 3, v[10:11]
	v_mad_u64_u32 v[5:6], null, s3, v24, v[2:3]
	v_mov_b32_e32 v2, v37
	v_add_co_u32 v3, s0, v25, v3
	v_mov_b32_e32 v18, v28
	v_lshlrev_b64 v[6:7], 3, v[14:15]
	v_add_co_ci_u32_e64 v4, s0, v35, v4, s0
	v_mad_u64_u32 v[8:9], null, s3, v9, v[2:3]
	v_lshlrev_b64 v[9:10], 3, v[17:18]
	v_mov_b32_e32 v20, v5
	v_add_co_u32 v5, s0, v25, v6
	v_add_co_ci_u32_e64 v6, s0, v35, v7, s0
	v_mov_b32_e32 v37, v8
	v_lshlrev_b64 v[11:12], 3, v[19:20]
	v_add_co_u32 v7, s0, v25, v9
	v_add_co_ci_u32_e64 v8, s0, v35, v10, s0
	v_lshlrev_b64 v[9:10], 3, v[36:37]
	v_add_co_u32 v11, s0, v25, v11
	v_add_co_ci_u32_e64 v12, s0, v35, v12, s0
	v_mov_b32_e32 v14, 0
	v_add_co_u32 v9, s0, v25, v9
	v_add_co_ci_u32_e64 v10, s0, v35, v10, s0
	s_clause 0x4
	global_load_dwordx2 v[56:57], v[3:4], off
	global_load_dwordx2 v[62:63], v[5:6], off
	;; [unrolled: 1-line block ×5, first 2 shown]
	v_mov_b32_e32 v15, 0
                                        ; implicit-def: $vgpr6
                                        ; implicit-def: $vgpr10
                                        ; implicit-def: $vgpr24
                                        ; implicit-def: $vgpr4
                                        ; implicit-def: $vgpr2
                                        ; implicit-def: $vgpr8
                                        ; implicit-def: $vgpr12
                                        ; implicit-def: $vgpr20
                                        ; implicit-def: $vgpr18
                                        ; implicit-def: $vgpr28
                                        ; implicit-def: $vgpr36
	v_cmpx_gt_u32_e32 8, v71
	s_cbranch_execz .LBB0_11
; %bb.10:
	v_add_nc_u32_e32 v8, 17, v71
	v_add_nc_u32_e32 v11, 42, v71
	;; [unrolled: 1-line block ×5, first 2 shown]
	v_mad_u64_u32 v[2:3], null, s2, v8, 0
	v_mad_u64_u32 v[4:5], null, s2, v11, 0
	;; [unrolled: 1-line block ×4, first 2 shown]
	v_add_nc_u32_e32 v18, 0x8e, v71
	v_add_nc_u32_e32 v24, 0x10b, v71
	v_mad_u64_u32 v[8:9], null, s3, v8, v[3:4]
	v_mad_u64_u32 v[9:10], null, s2, v14, 0
	v_mad_u64_u32 v[11:12], null, s3, v11, v[5:6]
	v_add_nc_u32_e32 v34, 0x124, v71
	v_add_nc_u32_e32 v79, 0x16f, v71
	v_mad_u64_u32 v[12:13], null, s3, v13, v[7:8]
	v_mov_b32_e32 v3, v8
	v_mov_b32_e32 v8, v10
	;; [unrolled: 1-line block ×3, first 2 shown]
	v_mad_u64_u32 v[72:73], null, s2, v79, 0
	v_lshlrev_b64 v[2:3], 3, v[2:3]
	v_mad_u64_u32 v[10:11], null, s3, v14, v[8:9]
	v_mov_b32_e32 v7, v12
	v_lshlrev_b64 v[4:5], 3, v[4:5]
	v_mov_b32_e32 v8, v17
	v_add_co_u32 v2, s0, v25, v2
	v_lshlrev_b64 v[6:7], 3, v[6:7]
	v_lshlrev_b64 v[9:10], 3, v[9:10]
	v_add_co_ci_u32_e64 v3, s0, v35, v3, s0
	v_mad_u64_u32 v[11:12], null, s2, v18, 0
	v_add_co_u32 v4, s0, v25, v4
	v_mad_u64_u32 v[13:14], null, s3, v15, v[8:9]
	v_add_co_ci_u32_e64 v5, s0, v35, v5, s0
	v_add_co_u32 v6, s0, v25, v6
	v_add_co_ci_u32_e64 v7, s0, v35, v7, s0
	v_add_co_u32 v8, s0, v25, v9
	v_mad_u64_u32 v[14:15], null, s3, v18, v[12:13]
	v_add_co_ci_u32_e64 v9, s0, v35, v10, s0
	v_add_nc_u32_e32 v10, 0xa7, v71
	v_mov_b32_e32 v17, v13
	v_or_b32_e32 v13, 0xc0, v71
	v_or_b32_e32 v82, 0x188, v71
	v_mov_b32_e32 v12, v14
	v_mad_u64_u32 v[20:21], null, s2, v10, 0
	s_clause 0x3
	global_load_dwordx2 v[14:15], v[2:3], off
	global_load_dwordx2 v[36:37], v[4:5], off
	;; [unrolled: 1-line block ×4, first 2 shown]
	v_mad_u64_u32 v[42:43], null, s2, v13, 0
	v_lshlrev_b64 v[5:6], 3, v[11:12]
	v_lshlrev_b64 v[2:3], 3, v[16:17]
	v_add_nc_u32_e32 v16, 0xd9, v71
	v_mov_b32_e32 v4, v21
	v_mov_b32_e32 v7, v43
	v_add_co_u32 v2, s0, v25, v2
	v_mad_u64_u32 v[8:9], null, s3, v10, v[4:5]
	v_add_co_ci_u32_e64 v3, s0, v35, v3, s0
	v_add_co_u32 v4, s0, v25, v5
	v_add_co_ci_u32_e64 v5, s0, v35, v6, s0
	v_mad_u64_u32 v[9:10], null, s3, v13, v[7:8]
	v_mad_u64_u32 v[10:11], null, s2, v16, 0
	v_mov_b32_e32 v21, v8
	v_mov_b32_e32 v43, v9
	v_add_nc_u32_e32 v9, 0xf2, v71
	v_mov_b32_e32 v6, v11
	v_lshlrev_b64 v[7:8], 3, v[20:21]
	v_lshlrev_b64 v[11:12], 3, v[42:43]
	v_mad_u64_u32 v[42:43], null, s2, v9, 0
	v_mad_u64_u32 v[16:17], null, s3, v16, v[6:7]
	v_add_co_u32 v6, s0, v25, v7
	v_add_co_ci_u32_e64 v7, s0, v35, v8, s0
	v_mov_b32_e32 v8, v43
	v_add_co_u32 v44, s0, v25, v11
	v_add_co_ci_u32_e64 v45, s0, v35, v12, s0
	v_mad_u64_u32 v[46:47], null, s3, v9, v[8:9]
	s_clause 0x3
	global_load_dwordx2 v[20:21], v[2:3], off
	global_load_dwordx2 v[12:13], v[4:5], off
	;; [unrolled: 1-line block ×4, first 2 shown]
	v_mov_b32_e32 v11, v16
	v_mad_u64_u32 v[16:17], null, s2, v24, 0
	v_lshlrev_b64 v[4:5], 3, v[10:11]
	v_mad_u64_u32 v[10:11], null, s2, v34, 0
	v_mov_b32_e32 v43, v46
	v_mov_b32_e32 v6, v17
	v_add_co_u32 v4, s0, v25, v4
	v_lshlrev_b64 v[42:43], 3, v[42:43]
	v_mad_u64_u32 v[6:7], null, s3, v24, v[6:7]
	v_mov_b32_e32 v7, v11
	v_add_nc_u32_e32 v24, 0x13d, v71
	v_add_co_ci_u32_e64 v5, s0, v35, v5, s0
	v_add_co_u32 v42, s0, v25, v42
	v_mov_b32_e32 v17, v6
	v_mad_u64_u32 v[44:45], null, s2, v24, 0
	v_add_co_ci_u32_e64 v43, s0, v35, v43, s0
	v_lshlrev_b64 v[16:17], 3, v[16:17]
	v_add_co_u32 v16, s0, v25, v16
	v_add_co_ci_u32_e64 v17, s0, v35, v17, s0
	s_waitcnt vmcnt(1)
	v_mad_u64_u32 v[6:7], null, s3, v34, v[7:8]
	v_add_nc_u32_e32 v34, 0x156, v71
	v_mad_u64_u32 v[46:47], null, s2, v34, 0
	v_mov_b32_e32 v11, v6
	v_mov_b32_e32 v6, v45
	v_lshlrev_b64 v[10:11], 3, v[10:11]
	v_mad_u64_u32 v[6:7], null, s3, v24, v[6:7]
	v_mov_b32_e32 v7, v47
	v_add_co_u32 v74, s0, v25, v10
	v_mad_u64_u32 v[76:77], null, s3, v34, v[7:8]
	v_mov_b32_e32 v45, v6
	v_mov_b32_e32 v6, v73
	v_add_nc_u32_e32 v34, 0x1a1, v71
	v_mad_u64_u32 v[77:78], null, s2, v82, 0
	v_add_co_ci_u32_e64 v75, s0, v35, v11, s0
	v_mad_u64_u32 v[79:80], null, s3, v79, v[6:7]
	v_mad_u64_u32 v[80:81], null, s2, v34, 0
	v_mov_b32_e32 v24, v78
	s_clause 0x3
	global_load_dwordx2 v[4:5], v[4:5], off
	global_load_dwordx2 v[6:7], v[42:43], off
	;; [unrolled: 1-line block ×4, first 2 shown]
	v_lshlrev_b64 v[42:43], 3, v[44:45]
	v_mov_b32_e32 v47, v76
	v_mov_b32_e32 v73, v79
	v_mad_u64_u32 v[44:45], null, s3, v82, v[24:25]
	v_mov_b32_e32 v24, v81
	v_lshlrev_b64 v[45:46], 3, v[46:47]
	v_add_co_u32 v42, s0, v25, v42
	v_add_co_ci_u32_e64 v43, s0, v35, v43, s0
	v_mad_u64_u32 v[74:75], null, s3, v34, v[24:25]
	v_mov_b32_e32 v78, v44
	v_lshlrev_b64 v[72:73], 3, v[72:73]
	v_add_co_u32 v44, s0, v25, v45
	v_add_co_ci_u32_e64 v45, s0, v35, v46, s0
	v_mov_b32_e32 v81, v74
	v_lshlrev_b64 v[46:47], 3, v[77:78]
	v_add_co_u32 v72, s0, v25, v72
	v_add_co_ci_u32_e64 v73, s0, v35, v73, s0
	v_lshlrev_b64 v[74:75], 3, v[80:81]
	v_add_co_u32 v46, s0, v25, v46
	v_add_co_ci_u32_e64 v47, s0, v35, v47, s0
	v_add_co_u32 v74, s0, v25, v74
	v_add_co_ci_u32_e64 v75, s0, v35, v75, s0
	s_clause 0x4
	global_load_dwordx2 v[24:25], v[42:43], off
	global_load_dwordx2 v[34:35], v[44:45], off
	;; [unrolled: 1-line block ×5, first 2 shown]
.LBB0_11:
	s_or_b32 exec_lo, exec_lo, s4
.LBB0_12:
	s_or_b32 exec_lo, exec_lo, s1
	s_waitcnt vmcnt(15)
	v_add_f32_e32 v72, v54, v60
	s_waitcnt vmcnt(0)
	v_add_f32_e32 v74, v66, v60
	v_mul_hi_u32 v73, 0xaaaaaaab, v70
	v_sub_f32_e32 v75, v61, v67
	v_add_f32_e32 v76, v68, v58
	v_add_f32_e32 v72, v72, v58
	v_mul_f32_e32 v78, 0x3f6eb680, v74
	v_mul_f32_e32 v80, 0x3ee437d1, v74
	v_sub_f32_e32 v77, v59, v69
	v_mul_f32_e32 v79, 0x3f3d2fb0, v74
	v_add_f32_e32 v72, v72, v52
	v_mul_f32_e32 v81, 0x3dbcf732, v74
	v_mul_f32_e32 v82, 0xbe8c1d8e, v74
	v_mul_f32_e32 v83, 0xbf1a4643, v74
	v_mul_f32_e32 v84, 0xbf59a7d5, v74
	v_add_f32_e32 v72, v72, v50
	v_mul_f32_e32 v74, 0xbf7ba420, v74
	v_mul_f32_e32 v85, 0x3f3d2fb0, v76
	;; [unrolled: 1-line block ×3, first 2 shown]
	v_lshrrev_b32_e32 v73, 1, v73
	v_add_f32_e32 v72, v72, v40
	v_fmamk_f32 v89, v75, 0x3eb8f4ab, v78
	v_fmac_f32_e32 v78, 0xbeb8f4ab, v75
	v_fmamk_f32 v91, v75, 0x3f65296c, v80
	v_fmac_f32_e32 v80, 0xbf65296c, v75
	v_add_f32_e32 v72, v72, v32
	v_mul_f32_e32 v86, 0x3dbcf732, v76
	v_mul_f32_e32 v88, 0xbf7ba420, v76
	v_fmamk_f32 v90, v75, 0x3f2c7751, v79
	v_fmac_f32_e32 v79, 0xbf2c7751, v75
	v_add_f32_e32 v72, v72, v22
	v_fmamk_f32 v92, v75, 0x3f7ee86f, v81
	v_fmac_f32_e32 v81, 0xbf7ee86f, v75
	v_fmamk_f32 v93, v75, 0x3f763a35, v82
	v_fmac_f32_e32 v82, 0xbf763a35, v75
	v_add_f32_e32 v72, v72, v26
	v_fmamk_f32 v94, v75, 0x3f4c4adb, v83
	v_fmac_f32_e32 v83, 0xbf4c4adb, v75
	;; [unrolled: 5-line block ×3, first 2 shown]
	v_fmamk_f32 v75, v77, 0x3f2c7751, v85
	v_fmac_f32_e32 v85, 0xbf2c7751, v77
	v_add_f32_e32 v72, v38, v72
	v_fmamk_f32 v98, v77, 0x3f4c4adb, v87
	v_lshl_add_u32 v73, v73, 1, v73
	v_add_f32_e32 v89, v89, v54
	v_add_f32_e32 v78, v78, v54
	v_add_f32_e32 v72, v48, v72
	v_add_f32_e32 v80, v80, v54
	v_fmac_f32_e32 v87, 0xbf4c4adb, v77
	v_fmamk_f32 v97, v77, 0x3f7ee86f, v86
	v_fmac_f32_e32 v86, 0xbf7ee86f, v77
	v_add_f32_e32 v72, v56, v72
	v_add_f32_e32 v79, v79, v54
	;; [unrolled: 1-line block ×3, first 2 shown]
	v_sub_nc_u32_e32 v70, v70, v73
	v_add_f32_e32 v73, v74, v54
	v_add_f32_e32 v72, v62, v72
	;; [unrolled: 1-line block ×4, first 2 shown]
	v_fmamk_f32 v85, v77, 0x3e3c28d5, v88
	v_fmac_f32_e32 v88, 0xbe3c28d5, v77
	v_add_f32_e32 v72, v64, v72
	v_add_f32_e32 v80, v80, v87
	v_mul_f32_e32 v87, 0xbe8c1d8e, v76
	v_add_f32_e32 v90, v90, v54
	v_add_f32_e32 v83, v83, v54
	;; [unrolled: 1-line block ×4, first 2 shown]
	v_mul_f32_e32 v86, 0xbf59a7d5, v76
	v_add_f32_e32 v81, v81, v88
	v_fmamk_f32 v88, v77, 0xbf763a35, v87
	v_fmac_f32_e32 v87, 0x3f763a35, v77
	v_add_f32_e32 v91, v91, v54
	v_add_f32_e32 v92, v92, v54
	;; [unrolled: 1-line block ×10, first 2 shown]
	v_fmamk_f32 v89, v77, 0xbf06c442, v86
	v_fmac_f32_e32 v86, 0x3f06c442, v77
	v_mul_f32_e32 v90, 0x3ee437d1, v76
	v_mul_f32_e32 v76, 0x3f6eb680, v76
	v_add_f32_e32 v83, v83, v87
	v_add_f32_e32 v87, v64, v52
	;; [unrolled: 1-line block ×7, first 2 shown]
	v_fmamk_f32 v88, v77, 0xbf65296c, v90
	v_fmac_f32_e32 v90, 0x3f65296c, v77
	v_fmamk_f32 v91, v77, 0xbeb8f4ab, v76
	v_sub_f32_e32 v92, v53, v65
	v_mul_f32_e32 v93, 0x3ee437d1, v87
	v_fmac_f32_e32 v76, 0x3eb8f4ab, v77
	v_add_f32_e32 v84, v84, v90
	v_add_f32_e32 v77, v96, v91
	v_mul_f32_e32 v90, 0xbf1a4643, v87
	v_fmamk_f32 v91, v92, 0x3f65296c, v93
	v_fmac_f32_e32 v93, 0xbf65296c, v92
	v_add_f32_e32 v73, v73, v76
	v_mul_f32_e32 v76, 0xbf7ba420, v87
	v_fmamk_f32 v94, v92, 0x3f4c4adb, v90
	v_add_f32_e32 v74, v74, v91
	v_add_f32_e32 v75, v75, v93
	v_fmac_f32_e32 v90, 0xbf4c4adb, v92
	v_fmamk_f32 v91, v92, 0xbe3c28d5, v76
	v_mul_f32_e32 v93, 0xbe8c1d8e, v87
	v_fmac_f32_e32 v76, 0x3e3c28d5, v92
	v_add_f32_e32 v72, v72, v94
	v_add_f32_e32 v78, v78, v90
	;; [unrolled: 1-line block ×3, first 2 shown]
	v_mul_f32_e32 v90, 0x3f3d2fb0, v87
	v_fmamk_f32 v91, v92, 0xbf763a35, v93
	v_add_f32_e32 v76, v80, v76
	v_mul_f32_e32 v80, 0x3f6eb680, v87
	v_fmac_f32_e32 v93, 0x3f763a35, v92
	v_fmamk_f32 v94, v92, 0xbf2c7751, v90
	v_add_f32_e32 v85, v85, v91
	v_fmac_f32_e32 v90, 0x3f2c7751, v92
	v_fmamk_f32 v91, v92, 0x3eb8f4ab, v80
	v_fmac_f32_e32 v80, 0xbeb8f4ab, v92
	v_add_f32_e32 v88, v95, v88
	v_add_f32_e32 v81, v81, v93
	v_add_f32_e32 v82, v82, v90
	v_mul_f32_e32 v90, 0x3dbcf732, v87
	v_mul_f32_e32 v87, 0xbf59a7d5, v87
	v_add_f32_e32 v80, v83, v80
	v_add_f32_e32 v83, v62, v50
	;; [unrolled: 1-line block ×4, first 2 shown]
	v_fmamk_f32 v91, v92, 0x3f7ee86f, v90
	v_fmac_f32_e32 v90, 0xbf7ee86f, v92
	v_fmamk_f32 v93, v92, 0x3f06c442, v87
	v_sub_f32_e32 v94, v51, v63
	v_mul_f32_e32 v95, 0x3dbcf732, v83
	v_fmac_f32_e32 v87, 0xbf06c442, v92
	v_add_f32_e32 v88, v88, v91
	v_add_f32_e32 v84, v84, v90
	v_mul_f32_e32 v91, 0xbf7ba420, v83
	v_fmamk_f32 v90, v94, 0x3f7ee86f, v95
	v_add_f32_e32 v73, v73, v87
	v_mul_f32_e32 v87, 0xbe8c1d8e, v83
	v_add_f32_e32 v77, v77, v93
	v_mul_f32_e32 v93, 0x3f6eb680, v83
	v_add_f32_e32 v74, v74, v90
	v_fmamk_f32 v90, v94, 0x3e3c28d5, v91
	v_fmac_f32_e32 v91, 0xbe3c28d5, v94
	v_fmamk_f32 v92, v94, 0xbf763a35, v87
	v_fmac_f32_e32 v87, 0x3f763a35, v94
	v_fmac_f32_e32 v95, 0xbf7ee86f, v94
	v_add_f32_e32 v72, v72, v90
	v_add_f32_e32 v78, v78, v91
	v_fmamk_f32 v90, v94, 0xbeb8f4ab, v93
	v_mul_f32_e32 v91, 0x3ee437d1, v83
	v_fmac_f32_e32 v93, 0x3eb8f4ab, v94
	v_add_f32_e32 v76, v76, v87
	v_mul_f32_e32 v87, 0xbf59a7d5, v83
	v_add_f32_e32 v79, v79, v92
	v_add_f32_e32 v85, v85, v90
	v_fmamk_f32 v90, v94, 0x3f65296c, v91
	v_add_f32_e32 v81, v81, v93
	v_fmamk_f32 v92, v94, 0x3f06c442, v87
	v_mul_f32_e32 v93, 0xbf1a4643, v83
	v_fmac_f32_e32 v87, 0xbf06c442, v94
	v_fmac_f32_e32 v91, 0xbf65296c, v94
	v_add_f32_e32 v89, v89, v90
	v_mul_f32_e32 v83, 0x3f3d2fb0, v83
	v_fmamk_f32 v90, v94, 0xbf4c4adb, v93
	v_add_f32_e32 v80, v80, v87
	v_add_f32_e32 v87, v56, v40
	;; [unrolled: 1-line block ×4, first 2 shown]
	v_fmac_f32_e32 v93, 0x3f4c4adb, v94
	v_add_f32_e32 v88, v88, v90
	v_fmamk_f32 v90, v94, 0xbf2c7751, v83
	v_sub_f32_e32 v91, v41, v57
	v_mul_f32_e32 v92, 0xbe8c1d8e, v87
	v_fmac_f32_e32 v83, 0x3f2c7751, v94
	v_add_f32_e32 v75, v75, v95
	v_add_f32_e32 v84, v84, v93
	;; [unrolled: 1-line block ×3, first 2 shown]
	v_mul_f32_e32 v90, 0xbf59a7d5, v87
	v_fmamk_f32 v93, v91, 0x3f763a35, v92
	v_fmac_f32_e32 v92, 0xbf763a35, v91
	v_add_f32_e32 v73, v73, v83
	v_mul_f32_e32 v83, 0x3f3d2fb0, v87
	v_fmamk_f32 v94, v91, 0xbf06c442, v90
	v_add_f32_e32 v74, v74, v93
	v_add_f32_e32 v75, v75, v92
	v_fmac_f32_e32 v90, 0x3f06c442, v91
	v_fmamk_f32 v92, v91, 0xbf2c7751, v83
	v_mul_f32_e32 v93, 0x3ee437d1, v87
	v_fmac_f32_e32 v83, 0x3f2c7751, v91
	v_add_f32_e32 v72, v72, v94
	v_add_f32_e32 v78, v78, v90
	;; [unrolled: 1-line block ×3, first 2 shown]
	v_mul_f32_e32 v90, 0xbf7ba420, v87
	v_fmamk_f32 v92, v91, 0x3f65296c, v93
	v_add_f32_e32 v76, v76, v83
	v_mul_f32_e32 v83, 0x3dbcf732, v87
	v_fmac_f32_e32 v93, 0xbf65296c, v91
	v_fmamk_f32 v94, v91, 0x3e3c28d5, v90
	v_add_f32_e32 v85, v85, v92
	v_fmac_f32_e32 v90, 0xbe3c28d5, v91
	v_fmamk_f32 v92, v91, 0xbf7ee86f, v83
	v_fmac_f32_e32 v83, 0x3f7ee86f, v91
	v_add_f32_e32 v89, v89, v94
	v_sub_f32_e32 v94, v33, v49
	v_add_f32_e32 v82, v82, v90
	v_mul_f32_e32 v90, 0x3f6eb680, v87
	v_add_f32_e32 v80, v80, v83
	v_add_f32_e32 v83, v48, v32
	;; [unrolled: 1-line block ×3, first 2 shown]
	v_mul_f32_e32 v87, 0xbf1a4643, v87
	v_fmamk_f32 v92, v91, 0x3eb8f4ab, v90
	v_fmac_f32_e32 v90, 0xbeb8f4ab, v91
	v_mul_f32_e32 v95, 0xbf1a4643, v83
	v_add_f32_e32 v81, v81, v93
	v_fmamk_f32 v93, v91, 0x3f4c4adb, v87
	v_fmac_f32_e32 v87, 0xbf4c4adb, v91
	v_add_f32_e32 v84, v84, v90
	v_fmamk_f32 v90, v94, 0x3f4c4adb, v95
	v_mul_f32_e32 v91, 0xbe8c1d8e, v83
	v_add_f32_e32 v77, v77, v93
	v_add_f32_e32 v73, v73, v87
	v_mul_f32_e32 v87, 0x3f6eb680, v83
	v_add_f32_e32 v74, v74, v90
	v_fmamk_f32 v90, v94, 0xbf763a35, v91
	v_fmac_f32_e32 v91, 0x3f763a35, v94
	v_mul_f32_e32 v93, 0xbf59a7d5, v83
	v_add_f32_e32 v88, v88, v92
	v_fmamk_f32 v92, v94, 0x3eb8f4ab, v87
	v_add_f32_e32 v72, v72, v90
	v_add_f32_e32 v78, v78, v91
	v_fmac_f32_e32 v87, 0xbeb8f4ab, v94
	v_fmamk_f32 v90, v94, 0x3f06c442, v93
	v_mul_f32_e32 v91, 0x3dbcf732, v83
	v_fmac_f32_e32 v93, 0xbf06c442, v94
	v_add_f32_e32 v79, v79, v92
	v_add_f32_e32 v76, v76, v87
	v_mul_f32_e32 v87, 0x3f3d2fb0, v83
	v_add_f32_e32 v85, v85, v90
	v_fmamk_f32 v90, v94, 0xbf7ee86f, v91
	v_add_f32_e32 v81, v81, v93
	v_mul_f32_e32 v93, 0xbf7ba420, v83
	v_fmamk_f32 v92, v94, 0x3f2c7751, v87
	v_fmac_f32_e32 v87, 0xbf2c7751, v94
	v_add_f32_e32 v89, v89, v90
	v_mul_f32_e32 v83, 0x3ee437d1, v83
	v_fmamk_f32 v90, v94, 0x3e3c28d5, v93
	v_fmac_f32_e32 v91, 0x3f7ee86f, v94
	v_add_f32_e32 v80, v80, v87
	v_add_f32_e32 v87, v38, v22
	v_fmac_f32_e32 v95, 0xbf4c4adb, v94
	v_add_f32_e32 v88, v88, v90
	v_fmamk_f32 v90, v94, 0xbf65296c, v83
	v_add_f32_e32 v82, v82, v91
	v_add_f32_e32 v86, v86, v92
	v_fmac_f32_e32 v93, 0xbe3c28d5, v94
	v_sub_f32_e32 v91, v23, v39
	v_mul_f32_e32 v92, 0xbf59a7d5, v87
	v_fmac_f32_e32 v83, 0x3f65296c, v94
	v_add_f32_e32 v77, v77, v90
	v_mul_f32_e32 v90, 0x3ee437d1, v87
	v_add_f32_e32 v75, v75, v95
	v_add_f32_e32 v84, v84, v93
	v_fmamk_f32 v93, v91, 0x3f06c442, v92
	v_fmac_f32_e32 v92, 0xbf06c442, v91
	v_add_f32_e32 v73, v73, v83
	v_mul_f32_e32 v83, 0x3dbcf732, v87
	v_fmamk_f32 v94, v91, 0xbf65296c, v90
	v_fmac_f32_e32 v90, 0x3f65296c, v91
	v_add_f32_e32 v74, v74, v93
	v_add_f32_e32 v75, v75, v92
	v_fmamk_f32 v92, v91, 0x3f7ee86f, v83
	v_mul_f32_e32 v93, 0xbf1a4643, v87
	v_fmac_f32_e32 v83, 0xbf7ee86f, v91
	v_add_f32_e32 v78, v78, v90
	v_mul_f32_e32 v90, 0x3f6eb680, v87
	v_add_f32_e32 v72, v72, v94
	v_add_f32_e32 v79, v79, v92
	v_fmamk_f32 v92, v91, 0xbf4c4adb, v93
	v_add_f32_e32 v76, v76, v83
	v_mul_f32_e32 v83, 0xbf7ba420, v87
	v_fmamk_f32 v94, v91, 0x3eb8f4ab, v90
	v_fmac_f32_e32 v90, 0xbeb8f4ab, v91
	v_fmac_f32_e32 v93, 0x3f4c4adb, v91
	v_add_f32_e32 v85, v85, v92
	v_fmamk_f32 v92, v91, 0x3e3c28d5, v83
	v_fmac_f32_e32 v83, 0xbe3c28d5, v91
	v_add_f32_e32 v82, v82, v90
	v_mul_f32_e32 v90, 0x3f3d2fb0, v87
	v_mul_f32_e32 v87, 0xbe8c1d8e, v87
	v_add_f32_e32 v81, v81, v93
	v_add_f32_e32 v80, v80, v83
	;; [unrolled: 1-line block ×4, first 2 shown]
	v_fmamk_f32 v93, v91, 0x3f763a35, v87
	v_fmac_f32_e32 v87, 0xbf763a35, v91
	v_add_f32_e32 v86, v86, v92
	v_fmamk_f32 v92, v91, 0xbf2c7751, v90
	v_fmac_f32_e32 v90, 0x3f2c7751, v91
	v_sub_f32_e32 v94, v27, v31
	v_mul_f32_e32 v95, 0xbf7ba420, v83
	v_add_f32_e32 v73, v73, v87
	v_mul_f32_e32 v87, 0xbf59a7d5, v83
	v_add_f32_e32 v88, v88, v92
	v_add_f32_e32 v84, v84, v90
	v_fmamk_f32 v90, v94, 0x3e3c28d5, v95
	v_mul_f32_e32 v91, 0x3f6eb680, v83
	v_fmamk_f32 v92, v94, 0x3f06c442, v87
	v_fmac_f32_e32 v87, 0xbf06c442, v94
	v_add_f32_e32 v77, v77, v93
	v_fmac_f32_e32 v95, 0xbe3c28d5, v94
	v_add_f32_e32 v90, v74, v90
	v_fmamk_f32 v74, v94, 0xbeb8f4ab, v91
	v_fmac_f32_e32 v91, 0x3eb8f4ab, v94
	v_mul_f32_e32 v93, 0x3f3d2fb0, v83
	v_add_f32_e32 v76, v76, v87
	v_mul_f32_e32 v87, 0x3ee437d1, v83
	v_add_f32_e32 v75, v75, v95
	v_add_f32_e32 v95, v72, v74
	;; [unrolled: 1-line block ×3, first 2 shown]
	v_fmamk_f32 v72, v94, 0xbf2c7751, v93
	v_mul_f32_e32 v74, 0xbf1a4643, v83
	v_fmamk_f32 v91, v94, 0xbf65296c, v87
	v_mul_u32_u24_e32 v70, 0x1a9, v70
	v_fmac_f32_e32 v87, 0x3f65296c, v94
	v_add_f32_e32 v85, v85, v72
	v_fmamk_f32 v72, v94, 0x3f4c4adb, v74
	v_fmac_f32_e32 v74, 0xbf4c4adb, v94
	v_add_f32_e32 v86, v86, v91
	v_mul_f32_e32 v91, 0xbe8c1d8e, v83
	v_mul_f32_e32 v83, 0x3dbcf732, v83
	v_add_f32_e32 v89, v89, v72
	v_add_f32_e32 v82, v82, v74
	v_mul_u32_u24_e32 v74, 0x44, v71
	v_lshlrev_b32_e32 v72, 2, v70
	v_fmamk_f32 v70, v94, 0x3f763a35, v91
	v_add_f32_e32 v80, v80, v87
	v_fmamk_f32 v87, v94, 0xbf7ee86f, v83
	v_fmac_f32_e32 v83, 0x3f7ee86f, v94
	v_fmac_f32_e32 v91, 0xbf763a35, v94
	v_add3_u32 v74, 0, v74, v72
	v_add_f32_e32 v88, v88, v70
	v_add_nc_u32_e32 v70, 17, v71
	v_add_f32_e32 v79, v79, v92
	v_fmac_f32_e32 v93, 0x3f2c7751, v94
	v_add_f32_e32 v77, v77, v87
	v_add_f32_e32 v73, v73, v83
	;; [unrolled: 1-line block ×3, first 2 shown]
	ds_write2_b32 v74, v54, v90 offset1:1
	ds_write2_b32 v74, v95, v79 offset0:2 offset1:3
	ds_write2_b32 v74, v85, v89 offset0:4 offset1:5
	;; [unrolled: 1-line block ×4, first 2 shown]
	v_cmp_gt_u32_e64 s0, 8, v71
	v_mul_u32_u24_e32 v73, 0x44, v70
	v_add_f32_e32 v81, v81, v93
	ds_write2_b32 v74, v84, v80 offset0:10 offset1:11
	ds_write2_b32 v74, v82, v81 offset0:12 offset1:13
	;; [unrolled: 1-line block ×3, first 2 shown]
	ds_write_b32 v74, v75 offset:64
	s_and_saveexec_b32 s1, s0
	s_cbranch_execz .LBB0_14
; %bb.13:
	v_sub_f32_e32 v84, v37, v45
	v_add_f32_e32 v79, v36, v44
	v_sub_f32_e32 v85, v29, v47
	v_add_f32_e32 v76, v28, v46
	v_sub_f32_e32 v86, v19, v43
	v_mul_f32_e32 v89, 0xbe3c28d5, v84
	v_add_f32_e32 v54, v18, v42
	v_mul_f32_e32 v90, 0x3eb8f4ab, v85
	v_sub_f32_e32 v82, v21, v35
	v_mul_f32_e32 v91, 0xbf06c442, v86
	v_fmamk_f32 v78, v79, 0xbf7ba420, v89
	v_add_f32_e32 v75, v20, v34
	v_fmamk_f32 v80, v76, 0x3f6eb680, v90
	v_sub_f32_e32 v83, v13, v25
	v_mul_f32_e32 v92, 0x3f2c7751, v82
	v_add_f32_e32 v81, v14, v78
	v_fmamk_f32 v93, v54, 0xbf59a7d5, v91
	v_add_f32_e32 v77, v12, v24
	v_sub_f32_e32 v87, v9, v17
	v_mul_f32_e32 v94, 0xbf4c4adb, v83
	v_add_f32_e32 v81, v81, v80
	v_fmamk_f32 v95, v75, 0x3f3d2fb0, v92
	v_add_f32_e32 v78, v8, v16
	v_sub_f32_e32 v88, v3, v11
	v_mul_f32_e32 v96, 0x3f65296c, v87
	v_add_f32_e32 v93, v81, v93
	v_fmamk_f32 v97, v77, 0xbf1a4643, v94
	v_fma_f32 v89, 0xbf7ba420, v79, -v89
	v_add_f32_e32 v80, v2, v10
	v_fmamk_f32 v98, v78, 0x3ee437d1, v96
	v_add_f32_e32 v93, v93, v95
	v_mul_f32_e32 v95, 0xbf763a35, v88
	v_fma_f32 v90, 0x3f6eb680, v76, -v90
	v_add_f32_e32 v89, v14, v89
	v_fma_f32 v91, 0xbf59a7d5, v54, -v91
	v_add_f32_e32 v93, v93, v97
	v_mul_f32_e32 v97, 0xbf06c442, v84
	v_fmamk_f32 v99, v80, 0xbe8c1d8e, v95
	v_add_f32_e32 v89, v89, v90
	v_add_f32_e32 v81, v4, v6
	;; [unrolled: 1-line block ×3, first 2 shown]
	v_sub_f32_e32 v93, v5, v7
	v_mul_f32_e32 v98, 0x3f65296c, v85
	v_fmamk_f32 v100, v79, 0xbf59a7d5, v97
	v_add_f32_e32 v89, v89, v91
	v_add_f32_e32 v90, v90, v99
	v_fma_f32 v91, 0x3f3d2fb0, v75, -v92
	v_mul_f32_e32 v92, 0x3f7ee86f, v93
	v_add_f32_e32 v99, v14, v100
	v_fmamk_f32 v100, v76, 0x3ee437d1, v98
	v_mul_f32_e32 v101, 0xbf7ee86f, v86
	v_add_f32_e32 v89, v89, v91
	v_fma_f32 v91, 0xbf1a4643, v77, -v94
	v_fmamk_f32 v94, v81, 0x3dbcf732, v92
	v_add_f32_e32 v99, v99, v100
	v_fmamk_f32 v100, v54, 0x3dbcf732, v101
	v_mul_f32_e32 v102, 0x3f4c4adb, v82
	v_add_f32_e32 v89, v89, v91
	v_fma_f32 v91, 0x3ee437d1, v78, -v96
	v_add_f32_e32 v90, v90, v94
	v_add_f32_e32 v94, v99, v100
	v_fmamk_f32 v96, v75, 0xbf1a4643, v102
	v_mul_f32_e32 v99, 0xbeb8f4ab, v83
	v_add_f32_e32 v89, v89, v91
	v_fma_f32 v91, 0xbf59a7d5, v79, -v97
	v_fma_f32 v95, 0xbe8c1d8e, v80, -v95
	v_add_f32_e32 v94, v94, v96
	v_fmamk_f32 v96, v77, 0x3f6eb680, v99
	v_mul_f32_e32 v97, 0xbe3c28d5, v87
	v_add_f32_e32 v91, v14, v91
	v_fma_f32 v98, 0x3ee437d1, v76, -v98
	v_add_f32_e32 v89, v89, v95
	v_add_f32_e32 v94, v94, v96
	v_fmamk_f32 v95, v78, 0xbf7ba420, v97
	v_mul_f32_e32 v96, 0x3f2c7751, v88
	v_add_f32_e32 v91, v91, v98
	v_fma_f32 v98, 0x3dbcf732, v54, -v101
	v_fma_f32 v92, 0x3dbcf732, v81, -v92
	v_add_f32_e32 v94, v94, v95
	v_fmamk_f32 v95, v80, 0x3f3d2fb0, v96
	v_mul_f32_e32 v100, 0xbf4c4adb, v84
	v_add_f32_e32 v91, v91, v98
	v_fma_f32 v98, 0xbf1a4643, v75, -v102
	v_add_f32_e32 v89, v89, v92
	v_add_f32_e32 v92, v94, v95
	v_fmamk_f32 v94, v79, 0xbf1a4643, v100
	v_mul_f32_e32 v95, 0x3f763a35, v85
	v_add_f32_e32 v91, v91, v98
	v_fma_f32 v98, 0x3f6eb680, v77, -v99
	v_mul_f32_e32 v99, 0xbf763a35, v93
	v_add_f32_e32 v94, v14, v94
	v_fmamk_f32 v101, v76, 0xbe8c1d8e, v95
	v_mul_f32_e32 v102, 0xbeb8f4ab, v86
	v_add_f32_e32 v91, v91, v98
	v_fma_f32 v97, 0xbf7ba420, v78, -v97
	v_fmamk_f32 v98, v81, 0xbe8c1d8e, v99
	v_add_f32_e32 v94, v94, v101
	v_fmamk_f32 v101, v54, 0x3f6eb680, v102
	v_mul_f32_e32 v103, 0xbf06c442, v82
	v_add_f32_e32 v91, v91, v97
	v_fma_f32 v96, 0x3f3d2fb0, v80, -v96
	v_add_f32_e32 v92, v92, v98
	v_add_f32_e32 v94, v94, v101
	v_fmamk_f32 v97, v75, 0xbf59a7d5, v103
	v_mul_f32_e32 v98, 0x3f7ee86f, v83
	v_add_f32_e32 v91, v91, v96
	v_fma_f32 v96, 0xbe8c1d8e, v81, -v99
	v_fma_f32 v99, 0xbf1a4643, v79, -v100
	v_add_f32_e32 v94, v94, v97
	v_fmamk_f32 v97, v77, 0x3dbcf732, v98
	v_mul_f32_e32 v100, 0xbf2c7751, v87
	v_add_f32_e32 v91, v91, v96
	v_add_f32_e32 v96, v14, v99
	v_fma_f32 v95, 0xbe8c1d8e, v76, -v95
	v_add_f32_e32 v94, v94, v97
	v_fmamk_f32 v97, v78, 0x3f3d2fb0, v100
	v_mul_f32_e32 v99, 0xbf763a35, v84
	v_mul_f32_e32 v105, 0x3f2c7751, v86
	v_add_f32_e32 v95, v96, v95
	v_fma_f32 v96, 0x3f6eb680, v54, -v102
	v_add_f32_e32 v94, v94, v97
	v_fmamk_f32 v97, v79, 0xbe8c1d8e, v99
	v_mul_f32_e32 v102, 0x3f06c442, v85
	v_mul_f32_e32 v101, 0xbe3c28d5, v88
	v_add_f32_e32 v95, v95, v96
	v_fma_f32 v96, 0xbf59a7d5, v75, -v103
	v_add_f32_e32 v97, v14, v97
	v_fmamk_f32 v103, v76, 0xbf59a7d5, v102
	v_fma_f32 v99, 0xbe8c1d8e, v79, -v99
	v_fmamk_f32 v104, v80, 0xbf7ba420, v101
	v_add_f32_e32 v95, v95, v96
	v_fma_f32 v96, 0x3dbcf732, v77, -v98
	v_add_f32_e32 v97, v97, v103
	v_fmamk_f32 v98, v54, 0x3f3d2fb0, v105
	v_mul_f32_e32 v103, 0xbf65296c, v82
	v_add_f32_e32 v99, v14, v99
	v_add_f32_e32 v95, v95, v96
	v_fma_f32 v96, 0x3f3d2fb0, v78, -v100
	v_add_f32_e32 v97, v97, v98
	v_fmamk_f32 v98, v75, 0x3ee437d1, v103
	v_mul_f32_e32 v100, 0xbe3c28d5, v83
	v_fma_f32 v102, 0xbf59a7d5, v76, -v102
	v_add_f32_e32 v94, v94, v104
	v_mul_f32_e32 v104, 0x3f65296c, v93
	v_add_f32_e32 v95, v95, v96
	v_fma_f32 v96, 0xbf7ba420, v80, -v101
	v_add_f32_e32 v97, v97, v98
	v_fmamk_f32 v98, v77, 0xbf7ba420, v100
	v_mul_f32_e32 v101, 0x3f7ee86f, v87
	v_add_f32_e32 v99, v99, v102
	v_fma_f32 v102, 0x3f3d2fb0, v54, -v105
	v_fmamk_f32 v106, v81, 0x3ee437d1, v104
	v_add_f32_e32 v95, v95, v96
	v_add_f32_e32 v96, v97, v98
	v_fmamk_f32 v97, v78, 0x3dbcf732, v101
	v_mul_f32_e32 v98, 0xbeb8f4ab, v88
	v_add_f32_e32 v99, v99, v102
	v_fma_f32 v102, 0x3ee437d1, v75, -v103
	v_add_f32_e32 v94, v94, v106
	v_fma_f32 v104, 0x3ee437d1, v81, -v104
	v_add_f32_e32 v96, v96, v97
	v_fmamk_f32 v97, v80, 0x3f6eb680, v98
	v_mul_f32_e32 v106, 0xbf7ee86f, v84
	v_add_f32_e32 v99, v99, v102
	v_fma_f32 v100, 0xbf7ba420, v77, -v100
	v_add_f32_e32 v95, v95, v104
	v_add_f32_e32 v96, v96, v97
	v_fmamk_f32 v97, v79, 0x3dbcf732, v106
	v_mul_f32_e32 v104, 0xbe3c28d5, v85
	v_add_f32_e32 v99, v99, v100
	v_fma_f32 v100, 0x3dbcf732, v78, -v101
	v_mul_f32_e32 v103, 0xbf4c4adb, v93
	v_add_f32_e32 v97, v14, v97
	v_fmamk_f32 v105, v76, 0xbf7ba420, v104
	v_mul_f32_e32 v107, 0x3f763a35, v86
	v_add_f32_e32 v99, v99, v100
	v_fma_f32 v98, 0x3f6eb680, v80, -v98
	v_fma_f32 v100, 0x3dbcf732, v79, -v106
	v_fmamk_f32 v102, v81, 0xbf1a4643, v103
	v_add_f32_e32 v97, v97, v105
	v_fmamk_f32 v105, v54, 0xbe8c1d8e, v107
	v_mul_f32_e32 v108, 0x3eb8f4ab, v82
	v_add_f32_e32 v98, v99, v98
	v_add_f32_e32 v99, v14, v100
	v_fma_f32 v100, 0xbf7ba420, v76, -v104
	v_add_f32_e32 v96, v96, v102
	v_add_f32_e32 v97, v97, v105
	v_fmamk_f32 v101, v75, 0x3f6eb680, v108
	v_mul_f32_e32 v102, 0xbf65296c, v83
	v_add_f32_e32 v99, v99, v100
	v_fma_f32 v100, 0xbe8c1d8e, v54, -v107
	v_mul_f32_e32 v105, 0xbf06c442, v87
	v_add_f32_e32 v97, v97, v101
	v_fmamk_f32 v101, v77, 0x3ee437d1, v102
	v_mul_f32_e32 v104, 0x3f4c4adb, v88
	v_add_f32_e32 v99, v99, v100
	v_fma_f32 v100, 0x3f6eb680, v75, -v108
	v_fma_f32 v103, 0xbf1a4643, v81, -v103
	v_add_f32_e32 v97, v97, v101
	v_fmamk_f32 v101, v78, 0xbf59a7d5, v105
	v_mul_f32_e32 v106, 0xbf65296c, v84
	v_add_f32_e32 v99, v99, v100
	v_fma_f32 v100, 0x3ee437d1, v77, -v102
	v_add_f32_e32 v98, v98, v103
	v_add_f32_e32 v97, v97, v101
	v_fmamk_f32 v101, v80, 0xbf1a4643, v104
	v_mul_f32_e32 v103, 0xbf4c4adb, v85
	v_add_f32_e32 v99, v99, v100
	v_fma_f32 v100, 0xbf59a7d5, v78, -v105
	v_mul_f32_e32 v108, 0x3e3c28d5, v86
	v_add_f32_e32 v97, v97, v101
	v_fmamk_f32 v101, v79, 0x3ee437d1, v106
	v_fmamk_f32 v102, v76, 0xbf1a4643, v103
	v_add_f32_e32 v99, v99, v100
	v_fma_f32 v100, 0x3ee437d1, v79, -v106
	v_fma_f32 v103, 0xbf1a4643, v76, -v103
	v_add_f32_e32 v101, v14, v101
	v_mul_f32_e32 v107, 0x3f2c7751, v93
	v_mul_f32_e32 v105, 0x3f763a35, v82
	v_add_f32_e32 v100, v14, v100
	v_fma_f32 v104, 0xbf1a4643, v80, -v104
	v_add_f32_e32 v101, v101, v102
	v_fmamk_f32 v102, v54, 0xbf7ba420, v108
	v_fmamk_f32 v109, v81, 0x3f3d2fb0, v107
	v_add_f32_e32 v100, v100, v103
	v_fma_f32 v103, 0xbf7ba420, v54, -v108
	v_mul_f32_e32 v106, 0x3f2c7751, v83
	v_add_f32_e32 v101, v101, v102
	v_fmamk_f32 v102, v75, 0xbe8c1d8e, v105
	v_add_f32_e32 v99, v99, v104
	v_fma_f32 v107, 0x3f3d2fb0, v81, -v107
	v_add_f32_e32 v100, v100, v103
	v_fma_f32 v103, 0xbe8c1d8e, v75, -v105
	v_mul_f32_e32 v105, 0xbf2c7751, v84
	v_add_f32_e32 v97, v97, v109
	v_add_f32_e32 v101, v101, v102
	v_fmamk_f32 v102, v77, 0x3f3d2fb0, v106
	v_mul_f32_e32 v109, 0xbeb8f4ab, v87
	v_add_f32_e32 v99, v99, v107
	v_add_f32_e32 v100, v100, v103
	v_fma_f32 v103, 0x3f3d2fb0, v77, -v106
	v_fmamk_f32 v106, v79, 0x3f3d2fb0, v105
	v_mul_f32_e32 v107, 0xbf7ee86f, v85
	v_add_f32_e32 v101, v101, v102
	v_fmamk_f32 v102, v78, 0x3f6eb680, v109
	v_mul_f32_e32 v104, 0xbf7ee86f, v88
	v_add_f32_e32 v100, v100, v103
	v_fma_f32 v103, 0x3f6eb680, v78, -v109
	v_add_f32_e32 v106, v14, v106
	v_fmamk_f32 v109, v76, 0x3dbcf732, v107
	v_mul_f32_e32 v110, 0xbf4c4adb, v86
	v_add_f32_e32 v101, v101, v102
	v_fmamk_f32 v102, v80, 0x3dbcf732, v104
	v_add_f32_e32 v100, v100, v103
	v_fma_f32 v103, 0x3dbcf732, v80, -v104
	v_fma_f32 v104, 0x3f3d2fb0, v79, -v105
	v_add_f32_e32 v105, v106, v109
	v_fmamk_f32 v106, v54, 0xbf1a4643, v110
	v_mul_f32_e32 v109, 0xbe3c28d5, v82
	v_add_f32_e32 v100, v100, v103
	v_add_f32_e32 v103, v14, v104
	v_fma_f32 v104, 0x3dbcf732, v76, -v107
	v_add_f32_e32 v105, v105, v106
	v_fmamk_f32 v106, v75, 0xbf7ba420, v109
	v_add_f32_e32 v101, v101, v102
	v_mul_f32_e32 v102, 0xbf06c442, v93
	v_add_f32_e32 v103, v103, v104
	v_fma_f32 v104, 0xbf1a4643, v54, -v110
	v_add_f32_e32 v105, v105, v106
	v_add_f32_e32 v106, v14, v36
	v_fmamk_f32 v108, v81, 0xbf59a7d5, v102
	v_fma_f32 v102, 0xbf59a7d5, v81, -v102
	v_add_f32_e32 v103, v103, v104
	v_fma_f32 v104, 0xbf7ba420, v75, -v109
	v_add_f32_e32 v106, v106, v28
	v_mul_f32_e32 v107, 0x3f06c442, v83
	v_add_f32_e32 v100, v100, v102
	v_mul_f32_e32 v111, 0x3f763a35, v87
	v_add_f32_e32 v103, v103, v104
	v_add_f32_e32 v104, v106, v18
	v_fmamk_f32 v110, v77, 0xbf59a7d5, v107
	v_fma_f32 v106, 0xbf59a7d5, v77, -v107
	v_fmamk_f32 v109, v78, 0xbe8c1d8e, v111
	v_mul_f32_e32 v84, 0xbeb8f4ab, v84
	v_add_f32_e32 v102, v104, v20
	v_add_f32_e32 v105, v105, v110
	v_mul_f32_e32 v110, 0x3f65296c, v88
	v_add_f32_e32 v103, v103, v106
	v_fma_f32 v104, 0xbe8c1d8e, v78, -v111
	v_add_f32_e32 v102, v102, v12
	v_add_f32_e32 v105, v105, v109
	v_fma_f32 v109, 0x3f6eb680, v79, -v84
	v_mul_f32_e32 v85, 0xbf2c7751, v85
	v_add_f32_e32 v103, v103, v104
	v_add_f32_e32 v102, v102, v8
	v_fma_f32 v104, 0x3ee437d1, v80, -v110
	v_fmamk_f32 v79, v79, 0x3f6eb680, v84
	v_mul_f32_e32 v86, 0xbf65296c, v86
	v_mul_f32_e32 v82, 0xbf7ee86f, v82
	v_add_f32_e32 v84, v102, v2
	v_add_f32_e32 v103, v103, v104
	;; [unrolled: 1-line block ×3, first 2 shown]
	v_fma_f32 v104, 0x3f3d2fb0, v76, -v85
	v_add_f32_e32 v14, v14, v79
	v_add_f32_e32 v79, v84, v4
	v_fmamk_f32 v76, v76, 0x3f3d2fb0, v85
	v_fma_f32 v85, 0x3ee437d1, v54, -v86
	v_add_f32_e32 v84, v102, v104
	v_fmamk_f32 v54, v54, 0x3ee437d1, v86
	v_add_f32_e32 v79, v79, v6
	v_add_f32_e32 v14, v14, v76
	v_mul_f32_e32 v83, 0xbf763a35, v83
	v_add_f32_e32 v76, v84, v85
	v_fma_f32 v84, 0x3dbcf732, v75, -v82
	v_add_f32_e32 v79, v10, v79
	v_add_f32_e32 v14, v14, v54
	v_fmamk_f32 v54, v75, 0x3dbcf732, v82
	v_mul_f32_e32 v82, 0xbf4c4adb, v87
	v_add_f32_e32 v75, v76, v84
	v_add_f32_e32 v76, v16, v79
	v_fma_f32 v79, 0xbe8c1d8e, v77, -v83
	v_add_f32_e32 v14, v14, v54
	v_fmamk_f32 v54, v77, 0xbe8c1d8e, v83
	v_fma_f32 v77, 0xbf1a4643, v78, -v82
	v_add_f32_e32 v76, v24, v76
	v_add_f32_e32 v75, v75, v79
	v_mul_f32_e32 v79, 0xbf06c442, v88
	v_add_f32_e32 v14, v14, v54
	v_mul_f32_e32 v106, 0x3eb8f4ab, v93
	v_add_f32_e32 v54, v34, v76
	v_fmamk_f32 v76, v78, 0xbf1a4643, v82
	v_add_f32_e32 v75, v75, v77
	v_fma_f32 v77, 0xbf59a7d5, v80, -v79
	v_mul_f32_e32 v78, 0xbe3c28d5, v93
	v_add_f32_e32 v54, v42, v54
	v_fmamk_f32 v107, v80, 0x3ee437d1, v110
	v_add_f32_e32 v14, v14, v76
	v_fmamk_f32 v76, v80, 0xbf59a7d5, v79
	v_add_f32_e32 v75, v75, v77
	v_fma_f32 v77, 0xbf7ba420, v81, -v78
	v_add_f32_e32 v54, v46, v54
	v_fma_f32 v79, 0x3f6eb680, v81, -v106
	v_add_f32_e32 v105, v105, v107
	v_fmamk_f32 v107, v81, 0x3f6eb680, v106
	v_add_f32_e32 v14, v14, v76
	v_fmamk_f32 v76, v81, 0xbf7ba420, v78
	v_add_f32_e32 v75, v75, v77
	v_add_f32_e32 v54, v44, v54
	v_add3_u32 v77, 0, v73, v72
	v_add_f32_e32 v78, v103, v79
	v_add_f32_e32 v79, v101, v108
	;; [unrolled: 1-line block ×4, first 2 shown]
	ds_write2_b32 v77, v54, v75 offset1:1
	ds_write2_b32 v77, v78, v100 offset0:2 offset1:3
	ds_write2_b32 v77, v99, v98 offset0:4 offset1:5
	;; [unrolled: 1-line block ×7, first 2 shown]
	ds_write_b32 v77, v14 offset:64
.LBB0_14:
	s_or_b32 exec_lo, exec_lo, s1
	v_add_f32_e32 v14, v55, v61
	v_sub_f32_e32 v54, v60, v66
	v_add_f32_e32 v60, v67, v61
	v_add_f32_e32 v61, v69, v59
	v_sub_f32_e32 v58, v58, v68
	v_add_f32_e32 v14, v14, v59
	v_mul_f32_e32 v59, 0xbeb8f4ab, v54
	v_mul_f32_e32 v66, 0xbf2c7751, v54
	;; [unrolled: 1-line block ×4, first 2 shown]
	v_add_f32_e32 v14, v14, v53
	v_mul_f32_e32 v76, 0xbf763a35, v54
	v_mul_f32_e32 v77, 0xbf4c4adb, v54
	;; [unrolled: 1-line block ×4, first 2 shown]
	v_add_f32_e32 v14, v14, v51
	v_mul_f32_e32 v79, 0xbf2c7751, v58
	v_mul_f32_e32 v80, 0xbf7ee86f, v58
	v_fmamk_f32 v84, v60, 0x3f6eb680, v59
	v_fma_f32 v59, 0x3f6eb680, v60, -v59
	v_add_f32_e32 v14, v14, v41
	v_fmamk_f32 v85, v60, 0x3f3d2fb0, v66
	v_fma_f32 v66, 0x3f3d2fb0, v60, -v66
	v_mul_f32_e32 v82, 0xbe3c28d5, v58
	v_mul_f32_e32 v83, 0x3f06c442, v58
	v_add_f32_e32 v14, v14, v33
	v_fmamk_f32 v86, v60, 0x3ee437d1, v68
	v_fma_f32 v68, 0x3ee437d1, v60, -v68
	v_fmamk_f32 v87, v60, 0x3dbcf732, v75
	v_fma_f32 v75, 0x3dbcf732, v60, -v75
	v_add_f32_e32 v14, v14, v23
	v_fmamk_f32 v88, v60, 0xbe8c1d8e, v76
	v_fma_f32 v76, 0xbe8c1d8e, v60, -v76
	v_fmamk_f32 v89, v60, 0xbf1a4643, v77
	v_fma_f32 v77, 0xbf1a4643, v60, -v77
	;; [unrolled: 5-line block ×4, first 2 shown]
	v_add_f32_e32 v14, v39, v14
	v_add_f32_e32 v59, v59, v55
	;; [unrolled: 1-line block ×8, first 2 shown]
	v_fma_f32 v79, 0xbf7ba420, v61, -v82
	v_mul_f32_e32 v80, 0x3f763a35, v58
	v_add_f32_e32 v14, v57, v14
	v_mul_f32_e32 v81, 0xbf4c4adb, v58
	v_add_f32_e32 v77, v77, v55
	v_add_f32_e32 v75, v75, v79
	v_fmamk_f32 v79, v61, 0xbe8c1d8e, v80
	v_add_f32_e32 v14, v63, v14
	v_fma_f32 v80, 0xbe8c1d8e, v61, -v80
	v_sub_f32_e32 v52, v52, v64
	v_fmamk_f32 v93, v61, 0xbf1a4643, v81
	v_fma_f32 v81, 0xbf1a4643, v61, -v81
	v_add_f32_e32 v14, v65, v14
	v_add_f32_e32 v84, v84, v55
	;; [unrolled: 1-line block ×9, first 2 shown]
	v_mul_f32_e32 v65, 0xbf65296c, v52
	v_add_f32_e32 v67, v67, v14
	v_fmamk_f32 v14, v61, 0xbf7ba420, v82
	v_fma_f32 v82, 0xbf59a7d5, v61, -v83
	v_add_f32_e32 v85, v85, v55
	v_add_f32_e32 v86, v86, v55
	;; [unrolled: 1-line block ×5, first 2 shown]
	v_mul_f32_e32 v82, 0x3f65296c, v58
	v_mul_f32_e32 v58, 0x3eb8f4ab, v58
	v_add_f32_e32 v89, v89, v55
	v_add_f32_e32 v90, v90, v55
	;; [unrolled: 1-line block ×3, first 2 shown]
	v_fmamk_f32 v64, v61, 0x3ee437d1, v82
	v_fma_f32 v80, 0x3ee437d1, v61, -v82
	v_fmamk_f32 v82, v61, 0x3f6eb680, v58
	v_fma_f32 v58, 0x3f6eb680, v61, -v58
	v_add_f32_e32 v68, v68, v81
	v_fmamk_f32 v81, v61, 0xbf59a7d5, v83
	v_add_f32_e32 v61, v78, v80
	v_add_f32_e32 v78, v91, v82
	v_fmamk_f32 v80, v53, 0x3ee437d1, v65
	v_mul_f32_e32 v82, 0xbf4c4adb, v52
	v_add_f32_e32 v54, v54, v58
	v_fma_f32 v58, 0x3ee437d1, v53, -v65
	v_mul_f32_e32 v65, 0x3e3c28d5, v52
	v_add_f32_e32 v55, v55, v80
	v_fmamk_f32 v80, v53, 0xbf1a4643, v82
	v_fma_f32 v82, 0xbf1a4643, v53, -v82
	v_add_f32_e32 v58, v59, v58
	v_fmamk_f32 v59, v53, 0xbf7ba420, v65
	v_mul_f32_e32 v83, 0x3f763a35, v52
	v_fma_f32 v65, 0xbf7ba420, v53, -v65
	v_add_f32_e32 v60, v85, v92
	v_add_f32_e32 v69, v86, v93
	;; [unrolled: 1-line block ×3, first 2 shown]
	v_fma_f32 v82, 0xbe8c1d8e, v53, -v83
	v_add_f32_e32 v65, v68, v65
	v_mul_f32_e32 v68, 0xbeb8f4ab, v52
	v_add_f32_e32 v14, v87, v14
	v_add_f32_e32 v60, v60, v80
	;; [unrolled: 1-line block ×3, first 2 shown]
	v_fmamk_f32 v69, v53, 0xbe8c1d8e, v83
	v_mul_f32_e32 v80, 0x3f2c7751, v52
	v_add_f32_e32 v75, v75, v82
	v_fmamk_f32 v82, v53, 0x3f6eb680, v68
	v_mul_f32_e32 v83, 0xbf7ee86f, v52
	v_fma_f32 v68, 0x3f6eb680, v53, -v68
	v_mul_f32_e32 v52, 0xbf06c442, v52
	v_sub_f32_e32 v50, v50, v62
	v_add_f32_e32 v14, v14, v69
	v_fmamk_f32 v69, v53, 0x3f3d2fb0, v80
	v_fma_f32 v80, 0x3f3d2fb0, v53, -v80
	v_add_f32_e32 v68, v77, v68
	v_fmamk_f32 v77, v53, 0xbf59a7d5, v52
	v_add_f32_e32 v51, v63, v51
	v_mul_f32_e32 v63, 0xbf7ee86f, v50
	v_fma_f32 v52, 0xbf59a7d5, v53, -v52
	v_add_f32_e32 v76, v76, v80
	v_fmamk_f32 v80, v53, 0x3dbcf732, v83
	v_fma_f32 v62, 0x3dbcf732, v53, -v83
	v_add_f32_e32 v53, v78, v77
	v_fmamk_f32 v77, v51, 0x3dbcf732, v63
	v_fma_f32 v63, 0x3dbcf732, v51, -v63
	v_add_f32_e32 v52, v54, v52
	v_mul_f32_e32 v54, 0x3f763a35, v50
	v_add_f32_e32 v61, v61, v62
	v_mul_f32_e32 v62, 0xbe3c28d5, v50
	v_add_f32_e32 v58, v58, v63
	v_add_f32_e32 v55, v55, v77
	v_fmamk_f32 v63, v51, 0xbe8c1d8e, v54
	v_mul_f32_e32 v77, 0x3eb8f4ab, v50
	v_fmamk_f32 v78, v51, 0xbf7ba420, v62
	v_fma_f32 v62, 0xbf7ba420, v51, -v62
	v_fma_f32 v54, 0xbe8c1d8e, v51, -v54
	v_add_f32_e32 v59, v59, v63
	v_mul_f32_e32 v63, 0xbf65296c, v50
	v_add_f32_e32 v60, v60, v78
	v_add_f32_e32 v62, v66, v62
	v_fmamk_f32 v66, v51, 0x3f6eb680, v77
	v_add_f32_e32 v54, v65, v54
	v_fma_f32 v65, 0x3f6eb680, v51, -v77
	v_mul_f32_e32 v77, 0xbf06c442, v50
	v_fmamk_f32 v78, v51, 0x3ee437d1, v63
	v_fma_f32 v63, 0x3ee437d1, v51, -v63
	v_add_f32_e32 v64, v90, v64
	v_add_f32_e32 v65, v75, v65
	v_fma_f32 v75, 0xbf59a7d5, v51, -v77
	v_sub_f32_e32 v40, v40, v56
	v_add_f32_e32 v63, v76, v63
	v_mul_f32_e32 v76, 0x3f4c4adb, v50
	v_mul_f32_e32 v50, 0x3f2c7751, v50
	v_add_f32_e32 v64, v64, v80
	v_add_f32_e32 v68, v68, v75
	;; [unrolled: 1-line block ×3, first 2 shown]
	v_fmamk_f32 v56, v51, 0xbf1a4643, v76
	v_fma_f32 v75, 0xbf1a4643, v51, -v76
	v_fmamk_f32 v76, v51, 0x3f3d2fb0, v50
	v_mul_f32_e32 v57, 0xbf763a35, v40
	v_fma_f32 v50, 0x3f3d2fb0, v51, -v50
	v_add_f32_e32 v14, v14, v66
	v_fmamk_f32 v66, v51, 0xbf59a7d5, v77
	v_add_f32_e32 v56, v64, v56
	v_add_f32_e32 v51, v61, v75
	v_fmamk_f32 v61, v41, 0xbe8c1d8e, v57
	v_mul_f32_e32 v64, 0x3f06c442, v40
	v_add_f32_e32 v50, v52, v50
	v_fma_f32 v52, 0xbe8c1d8e, v41, -v57
	v_mul_f32_e32 v57, 0x3f2c7751, v40
	v_add_f32_e32 v79, v89, v79
	v_add_f32_e32 v55, v55, v61
	v_fmamk_f32 v61, v41, 0xbf59a7d5, v64
	v_fma_f32 v64, 0xbf59a7d5, v41, -v64
	v_add_f32_e32 v52, v58, v52
	v_fmamk_f32 v58, v41, 0x3f3d2fb0, v57
	v_mul_f32_e32 v75, 0xbf65296c, v40
	v_fma_f32 v57, 0x3f3d2fb0, v41, -v57
	v_add_f32_e32 v79, v79, v82
	v_add_f32_e32 v60, v60, v61
	;; [unrolled: 1-line block ×4, first 2 shown]
	v_fmamk_f32 v59, v41, 0x3ee437d1, v75
	v_mul_f32_e32 v62, 0xbe3c28d5, v40
	v_fma_f32 v64, 0x3ee437d1, v41, -v75
	v_add_f32_e32 v54, v54, v57
	v_mul_f32_e32 v57, 0x3f7ee86f, v40
	v_add_f32_e32 v66, v79, v66
	v_add_f32_e32 v14, v14, v59
	v_fmamk_f32 v59, v41, 0xbf7ba420, v62
	v_add_f32_e32 v64, v65, v64
	v_fma_f32 v62, 0xbf7ba420, v41, -v62
	v_fmamk_f32 v65, v41, 0x3dbcf732, v57
	v_mul_f32_e32 v75, 0xbeb8f4ab, v40
	v_mul_f32_e32 v40, 0xbf4c4adb, v40
	v_sub_f32_e32 v32, v32, v48
	v_add_f32_e32 v62, v63, v62
	v_add_f32_e32 v63, v66, v65
	v_fmamk_f32 v65, v41, 0x3f6eb680, v75
	v_add_f32_e32 v53, v53, v76
	v_fma_f32 v48, 0x3f6eb680, v41, -v75
	v_add_f32_e32 v33, v49, v33
	v_mul_f32_e32 v49, 0xbf4c4adb, v32
	v_add_f32_e32 v56, v56, v65
	v_fmamk_f32 v65, v41, 0xbf1a4643, v40
	v_fma_f32 v40, 0xbf1a4643, v41, -v40
	v_fma_f32 v57, 0x3dbcf732, v41, -v57
	v_add_f32_e32 v48, v51, v48
	v_mul_f32_e32 v51, 0x3f763a35, v32
	v_add_f32_e32 v41, v53, v65
	v_fmamk_f32 v53, v33, 0xbf1a4643, v49
	v_fma_f32 v49, 0xbf1a4643, v33, -v49
	v_add_f32_e32 v40, v50, v40
	v_mul_f32_e32 v50, 0xbeb8f4ab, v32
	v_fmamk_f32 v65, v33, 0xbe8c1d8e, v51
	v_add_f32_e32 v53, v55, v53
	v_add_f32_e32 v49, v52, v49
	v_fma_f32 v51, 0xbe8c1d8e, v33, -v51
	v_fmamk_f32 v52, v33, 0x3f6eb680, v50
	v_add_f32_e32 v55, v60, v65
	v_mul_f32_e32 v60, 0xbf06c442, v32
	v_fma_f32 v50, 0x3f6eb680, v33, -v50
	v_add_f32_e32 v51, v61, v51
	v_add_f32_e32 v52, v58, v52
	v_mul_f32_e32 v58, 0x3f7ee86f, v32
	v_fmamk_f32 v61, v33, 0xbf59a7d5, v60
	v_add_f32_e32 v50, v54, v50
	v_fma_f32 v54, 0xbf59a7d5, v33, -v60
	v_mul_f32_e32 v60, 0xbf2c7751, v32
	v_fmamk_f32 v65, v33, 0x3dbcf732, v58
	v_fma_f32 v58, 0x3dbcf732, v33, -v58
	v_add_f32_e32 v57, v68, v57
	v_add_f32_e32 v14, v14, v61
	v_fmamk_f32 v61, v33, 0x3f3d2fb0, v60
	v_fma_f32 v60, 0x3f3d2fb0, v33, -v60
	v_add_f32_e32 v58, v62, v58
	v_mul_f32_e32 v62, 0xbe3c28d5, v32
	v_mul_f32_e32 v32, 0x3f65296c, v32
	v_sub_f32_e32 v22, v22, v38
	v_add_f32_e32 v57, v57, v60
	v_add_f32_e32 v23, v39, v23
	v_fmamk_f32 v38, v33, 0xbf7ba420, v62
	v_fma_f32 v60, 0xbf7ba420, v33, -v62
	v_fmamk_f32 v62, v33, 0x3ee437d1, v32
	v_mul_f32_e32 v39, 0xbf06c442, v22
	v_fma_f32 v32, 0x3ee437d1, v33, -v32
	v_add_f32_e32 v38, v56, v38
	v_add_f32_e32 v33, v48, v60
	v_mul_f32_e32 v56, 0x3f65296c, v22
	v_fmamk_f32 v48, v23, 0xbf59a7d5, v39
	v_add_f32_e32 v32, v40, v32
	v_fma_f32 v39, 0xbf59a7d5, v23, -v39
	v_mul_f32_e32 v40, 0xbf7ee86f, v22
	v_mul_f32_e32 v60, 0x3f4c4adb, v22
	v_add_f32_e32 v48, v53, v48
	v_fmamk_f32 v53, v23, 0x3ee437d1, v56
	v_add_f32_e32 v39, v49, v39
	v_fmamk_f32 v49, v23, 0x3dbcf732, v40
	v_fma_f32 v56, 0x3ee437d1, v23, -v56
	v_add_f32_e32 v81, v88, v81
	v_add_f32_e32 v53, v55, v53
	v_mul_f32_e32 v55, 0xbeb8f4ab, v22
	v_add_f32_e32 v49, v52, v49
	v_fmamk_f32 v52, v23, 0xbf1a4643, v60
	v_add_f32_e32 v51, v51, v56
	v_fma_f32 v40, 0x3dbcf732, v23, -v40
	v_fma_f32 v56, 0xbf1a4643, v23, -v60
	v_mul_f32_e32 v60, 0x3f2c7751, v22
	v_add_f32_e32 v14, v14, v52
	v_fmamk_f32 v52, v23, 0x3f6eb680, v55
	v_fma_f32 v55, 0x3f6eb680, v23, -v55
	v_add_f32_e32 v69, v81, v69
	v_add_f32_e32 v40, v50, v40
	v_mul_f32_e32 v50, 0xbe3c28d5, v22
	v_mul_f32_e32 v22, 0xbf763a35, v22
	v_add_f32_e32 v55, v58, v55
	v_fmamk_f32 v58, v23, 0x3f3d2fb0, v60
	v_sub_f32_e32 v26, v26, v30
	v_add_f32_e32 v69, v69, v78
	v_add_f32_e32 v54, v64, v54
	v_fma_f32 v30, 0x3f3d2fb0, v23, -v60
	v_add_f32_e32 v66, v38, v58
	v_fmamk_f32 v38, v23, 0xbe8c1d8e, v22
	v_add_f32_e32 v68, v31, v27
	v_mul_f32_e32 v27, 0xbe3c28d5, v26
	v_fma_f32 v22, 0xbe8c1d8e, v23, -v22
	v_add_f32_e32 v59, v69, v59
	v_add_f32_e32 v54, v54, v56
	v_fmamk_f32 v56, v23, 0xbf7ba420, v50
	v_fma_f32 v50, 0xbf7ba420, v23, -v50
	v_add_f32_e32 v69, v33, v30
	v_mul_f32_e32 v23, 0x3eb8f4ab, v26
	v_fmamk_f32 v30, v68, 0xbf7ba420, v27
	v_fma_f32 v27, 0xbf7ba420, v68, -v27
	v_add_f32_e32 v76, v32, v22
	v_mul_f32_e32 v22, 0xbf06c442, v26
	v_fmamk_f32 v31, v68, 0x3f6eb680, v23
	v_add_f32_e32 v77, v48, v30
	v_add_f32_e32 v78, v39, v27
	v_fma_f32 v23, 0x3f6eb680, v68, -v23
	v_fmamk_f32 v27, v68, 0xbf59a7d5, v22
	v_mul_f32_e32 v30, 0x3f2c7751, v26
	v_fma_f32 v22, 0xbf59a7d5, v68, -v22
	v_add_f32_e32 v61, v63, v61
	v_add_f32_e32 v80, v51, v23
	;; [unrolled: 1-line block ×3, first 2 shown]
	v_mul_f32_e32 v23, 0xbf4c4adb, v26
	v_fmamk_f32 v27, v68, 0x3f3d2fb0, v30
	v_add_f32_e32 v59, v59, v65
	v_add_f32_e32 v82, v40, v22
	v_mul_f32_e32 v22, 0x3f65296c, v26
	v_add_f32_e32 v56, v61, v56
	v_add_f32_e32 v83, v14, v27
	v_fma_f32 v14, 0xbf1a4643, v68, -v23
	v_add_f32_e32 v41, v41, v62
	v_add_f32_e32 v52, v59, v52
	;; [unrolled: 1-line block ×3, first 2 shown]
	v_fma_f32 v30, 0x3f3d2fb0, v68, -v30
	v_add_f32_e32 v86, v55, v14
	v_lshlrev_b32_e32 v14, 2, v71
	v_fmamk_f32 v31, v68, 0xbf1a4643, v23
	v_fmamk_f32 v23, v68, 0x3ee437d1, v22
	v_mul_f32_e32 v27, 0xbf763a35, v26
	v_add_f32_e32 v65, v57, v50
	v_add3_u32 v61, 0, v14, v72
	v_add3_u32 v60, 0, v72, v14
	v_add_f32_e32 v75, v41, v38
	v_add_f32_e32 v84, v54, v30
	;; [unrolled: 1-line block ×3, first 2 shown]
	v_add_nc_u32_e32 v63, 0x200, v61
	v_add_nc_u32_e32 v62, 0x400, v61
	v_add_f32_e32 v87, v56, v23
	v_fma_f32 v88, 0x3ee437d1, v68, -v22
	v_fmamk_f32 v89, v68, 0xbe8c1d8e, v27
	v_fma_f32 v90, 0xbe8c1d8e, v68, -v27
	v_mul_f32_e32 v91, 0x3f7ee86f, v26
	s_waitcnt lgkmcnt(0)
	s_barrier
	buffer_gl0_inv
	ds_read_b32 v64, v60
	ds_read2_b32 v[58:59], v61 offset0:85 offset1:102
	ds_read2_b32 v[32:33], v61 offset0:153 offset1:170
	;; [unrolled: 1-line block ×12, first 2 shown]
	v_fmamk_f32 v92, v68, 0x3dbcf732, v91
	v_fma_f32 v68, 0x3dbcf732, v68, -v91
	v_add_f32_e32 v66, v66, v89
	v_add_f32_e32 v65, v65, v88
	v_add_f32_e32 v69, v69, v90
	v_add_f32_e32 v75, v75, v92
	v_add_f32_e32 v68, v76, v68
	s_waitcnt lgkmcnt(0)
	s_barrier
	buffer_gl0_inv
	ds_write2_b32 v74, v67, v77 offset1:1
	ds_write2_b32 v74, v79, v81 offset0:2 offset1:3
	ds_write2_b32 v74, v83, v85 offset0:4 offset1:5
	;; [unrolled: 1-line block ×7, first 2 shown]
	ds_write_b32 v74, v78 offset:64
	s_and_saveexec_b32 s1, s0
	s_cbranch_execz .LBB0_16
; %bb.15:
	v_add_f32_e32 v65, v15, v37
	v_sub_f32_e32 v36, v36, v44
	v_add_f32_e32 v44, v29, v47
	v_add_f32_e32 v37, v37, v45
	v_sub_f32_e32 v28, v28, v46
	v_add_f32_e32 v29, v65, v29
	v_mul_f32_e32 v46, 0xbeb8f4ab, v36
	v_mul_f32_e32 v65, 0xbf2c7751, v36
	;; [unrolled: 1-line block ×4, first 2 shown]
	v_add_f32_e32 v29, v29, v19
	v_mul_f32_e32 v68, 0xbf763a35, v36
	v_mul_f32_e32 v69, 0xbf4c4adb, v36
	;; [unrolled: 1-line block ×4, first 2 shown]
	v_add_f32_e32 v29, v29, v21
	v_mul_f32_e32 v75, 0xbf2c7751, v28
	v_mul_f32_e32 v76, 0xbf7ee86f, v28
	v_fmamk_f32 v79, v37, 0x3f6eb680, v46
	v_fma_f32 v46, 0x3f6eb680, v37, -v46
	v_add_f32_e32 v29, v29, v13
	v_fmamk_f32 v80, v37, 0x3f3d2fb0, v65
	v_fma_f32 v65, 0x3f3d2fb0, v37, -v65
	v_mul_f32_e32 v78, 0xbe3c28d5, v28
	v_fmamk_f32 v81, v37, 0x3ee437d1, v66
	v_add_f32_e32 v29, v29, v9
	v_fma_f32 v66, 0x3ee437d1, v37, -v66
	v_fmamk_f32 v82, v37, 0x3dbcf732, v67
	v_fma_f32 v67, 0x3dbcf732, v37, -v67
	v_fmamk_f32 v83, v37, 0xbe8c1d8e, v68
	v_add_f32_e32 v29, v29, v3
	v_fma_f32 v68, 0xbe8c1d8e, v37, -v68
	v_fmamk_f32 v84, v37, 0xbf1a4643, v69
	v_fma_f32 v69, 0xbf1a4643, v37, -v69
	;; [unrolled: 5-line block ×4, first 2 shown]
	v_add_f32_e32 v79, v15, v79
	v_add_f32_e32 v29, v11, v29
	;; [unrolled: 1-line block ×23, first 2 shown]
	v_fma_f32 v75, 0xbf7ba420, v44, -v78
	v_mul_f32_e32 v77, 0xbf4c4adb, v28
	v_mul_f32_e32 v79, 0x3f65296c, v28
	v_add_f32_e32 v29, v47, v29
	v_add_f32_e32 v47, v65, v76
	v_mul_f32_e32 v76, 0x3f763a35, v28
	v_add_f32_e32 v67, v67, v75
	v_sub_f32_e32 v18, v18, v42
	v_add_f32_e32 v29, v45, v29
	v_mul_f32_e32 v45, 0x3f06c442, v28
	v_fmamk_f32 v75, v44, 0xbe8c1d8e, v76
	v_fma_f32 v76, 0xbe8c1d8e, v44, -v76
	v_mul_f32_e32 v28, 0x3eb8f4ab, v28
	v_fmamk_f32 v89, v44, 0xbf7ba420, v78
	v_fmamk_f32 v78, v44, 0xbf59a7d5, v45
	v_fma_f32 v45, 0xbf59a7d5, v44, -v45
	v_add_f32_e32 v69, v69, v76
	v_fma_f32 v42, 0x3ee437d1, v44, -v79
	v_fmamk_f32 v76, v44, 0x3f6eb680, v28
	v_add_f32_e32 v19, v19, v43
	v_mul_f32_e32 v43, 0xbf65296c, v18
	v_fma_f32 v28, 0x3f6eb680, v44, -v28
	v_fmamk_f32 v88, v44, 0xbf1a4643, v77
	v_fma_f32 v77, 0xbf1a4643, v44, -v77
	v_add_f32_e32 v45, v68, v45
	v_add_f32_e32 v68, v84, v75
	v_fmamk_f32 v75, v44, 0x3ee437d1, v79
	v_add_f32_e32 v42, v74, v42
	v_add_f32_e32 v44, v86, v76
	v_mul_f32_e32 v74, 0xbf4c4adb, v18
	v_fmamk_f32 v76, v19, 0x3ee437d1, v43
	v_fma_f32 v43, 0x3ee437d1, v19, -v43
	v_add_f32_e32 v15, v15, v28
	v_mul_f32_e32 v28, 0x3e3c28d5, v18
	v_add_f32_e32 v65, v81, v88
	v_fmamk_f32 v79, v19, 0xbf1a4643, v74
	v_add_f32_e32 v37, v37, v43
	v_fma_f32 v43, 0xbf1a4643, v19, -v74
	v_fmamk_f32 v74, v19, 0xbf7ba420, v28
	v_add_f32_e32 v46, v80, v87
	v_add_f32_e32 v66, v66, v77
	;; [unrolled: 1-line block ×3, first 2 shown]
	v_mul_f32_e32 v76, 0x3f763a35, v18
	v_fma_f32 v28, 0xbf7ba420, v19, -v28
	v_add_f32_e32 v43, v47, v43
	v_add_f32_e32 v47, v65, v74
	v_mul_f32_e32 v65, 0x3f2c7751, v18
	v_add_f32_e32 v46, v46, v79
	v_fmamk_f32 v74, v19, 0xbe8c1d8e, v76
	v_add_f32_e32 v28, v66, v28
	v_fma_f32 v66, 0xbe8c1d8e, v19, -v76
	v_mul_f32_e32 v76, 0xbeb8f4ab, v18
	v_fmamk_f32 v79, v19, 0x3f3d2fb0, v65
	v_fma_f32 v65, 0x3f3d2fb0, v19, -v65
	v_sub_f32_e32 v20, v20, v34
	v_add_f32_e32 v66, v67, v66
	v_fmamk_f32 v67, v19, 0x3f6eb680, v76
	v_fma_f32 v76, 0x3f6eb680, v19, -v76
	v_add_f32_e32 v45, v45, v65
	v_mul_f32_e32 v65, 0xbf7ee86f, v18
	v_mul_f32_e32 v18, 0xbf06c442, v18
	v_add_f32_e32 v67, v68, v67
	v_add_f32_e32 v68, v69, v76
	;; [unrolled: 1-line block ×3, first 2 shown]
	v_fmamk_f32 v34, v19, 0x3dbcf732, v65
	v_fma_f32 v65, 0x3dbcf732, v19, -v65
	v_fmamk_f32 v69, v19, 0xbf59a7d5, v18
	v_mul_f32_e32 v35, 0xbf7ee86f, v20
	v_fma_f32 v18, 0xbf59a7d5, v19, -v18
	v_add_f32_e32 v77, v82, v89
	v_add_f32_e32 v19, v42, v65
	;; [unrolled: 1-line block ×3, first 2 shown]
	v_fmamk_f32 v44, v21, 0x3dbcf732, v35
	v_mul_f32_e32 v65, 0xbe3c28d5, v20
	v_add_f32_e32 v15, v15, v18
	v_fma_f32 v18, 0x3dbcf732, v21, -v35
	v_mul_f32_e32 v35, 0x3f763a35, v20
	v_add_f32_e32 v36, v36, v44
	v_fmamk_f32 v44, v21, 0xbf7ba420, v65
	v_fma_f32 v65, 0xbf7ba420, v21, -v65
	v_add_f32_e32 v18, v37, v18
	v_fmamk_f32 v37, v21, 0xbe8c1d8e, v35
	v_mul_f32_e32 v69, 0x3eb8f4ab, v20
	v_fma_f32 v35, 0xbe8c1d8e, v21, -v35
	v_add_f32_e32 v74, v77, v74
	v_add_f32_e32 v44, v46, v44
	;; [unrolled: 1-line block ×4, first 2 shown]
	v_fmamk_f32 v46, v21, 0x3f6eb680, v69
	v_mul_f32_e32 v47, 0xbf65296c, v20
	v_fma_f32 v65, 0x3f6eb680, v21, -v69
	v_add_f32_e32 v28, v28, v35
	v_mul_f32_e32 v35, 0xbf06c442, v20
	v_add_f32_e32 v75, v85, v75
	v_add_f32_e32 v46, v74, v46
	v_fmamk_f32 v69, v21, 0x3ee437d1, v47
	v_add_f32_e32 v65, v66, v65
	v_fma_f32 v47, 0x3ee437d1, v21, -v47
	v_fmamk_f32 v66, v21, 0xbf59a7d5, v35
	v_mul_f32_e32 v74, 0x3f4c4adb, v20
	v_add_f32_e32 v34, v75, v34
	v_mul_f32_e32 v20, 0x3f2c7751, v20
	v_add_f32_e32 v45, v45, v47
	v_add_f32_e32 v47, v67, v66
	v_fmamk_f32 v66, v21, 0xbf1a4643, v74
	v_sub_f32_e32 v12, v12, v24
	v_fma_f32 v24, 0xbf1a4643, v21, -v74
	v_add_f32_e32 v13, v13, v25
	v_fma_f32 v35, 0xbf59a7d5, v21, -v35
	v_add_f32_e32 v34, v34, v66
	v_fmamk_f32 v66, v21, 0x3f3d2fb0, v20
	v_mul_f32_e32 v25, 0xbf763a35, v12
	v_fma_f32 v20, 0x3f3d2fb0, v21, -v20
	v_add_f32_e32 v19, v19, v24
	v_mul_f32_e32 v24, 0x3f06c442, v12
	v_add_f32_e32 v21, v42, v66
	v_fmamk_f32 v42, v13, 0xbe8c1d8e, v25
	v_fma_f32 v25, 0xbe8c1d8e, v13, -v25
	v_add_f32_e32 v15, v15, v20
	v_mul_f32_e32 v20, 0x3f2c7751, v12
	v_fmamk_f32 v66, v13, 0xbf59a7d5, v24
	v_add_f32_e32 v36, v36, v42
	v_add_f32_e32 v18, v18, v25
	v_fma_f32 v24, 0xbf59a7d5, v13, -v24
	v_fmamk_f32 v25, v13, 0x3f3d2fb0, v20
	v_add_f32_e32 v42, v44, v66
	v_mul_f32_e32 v44, 0xbf65296c, v12
	v_fma_f32 v20, 0x3f3d2fb0, v13, -v20
	v_add_f32_e32 v24, v43, v24
	v_add_f32_e32 v25, v37, v25
	v_mul_f32_e32 v37, 0xbe3c28d5, v12
	v_fmamk_f32 v43, v13, 0x3ee437d1, v44
	v_add_f32_e32 v20, v28, v20
	v_fma_f32 v28, 0x3ee437d1, v13, -v44
	v_mul_f32_e32 v44, 0x3f7ee86f, v12
	v_fmamk_f32 v66, v13, 0xbf7ba420, v37
	v_fma_f32 v37, 0xbf7ba420, v13, -v37
	v_add_f32_e32 v35, v68, v35
	v_add_f32_e32 v43, v46, v43
	v_fmamk_f32 v46, v13, 0x3dbcf732, v44
	v_fma_f32 v44, 0x3dbcf732, v13, -v44
	v_add_f32_e32 v37, v45, v37
	v_mul_f32_e32 v45, 0xbeb8f4ab, v12
	v_mul_f32_e32 v12, 0xbf4c4adb, v12
	v_sub_f32_e32 v8, v8, v16
	v_add_f32_e32 v35, v35, v44
	v_add_f32_e32 v9, v9, v17
	v_fmamk_f32 v16, v13, 0x3f6eb680, v45
	v_fma_f32 v44, 0x3f6eb680, v13, -v45
	v_fmamk_f32 v45, v13, 0xbf1a4643, v12
	v_mul_f32_e32 v17, 0xbf4c4adb, v8
	v_fma_f32 v12, 0xbf1a4643, v13, -v12
	v_add_f32_e32 v16, v34, v16
	v_mul_f32_e32 v34, 0x3f763a35, v8
	v_add_f32_e32 v13, v21, v45
	v_fmamk_f32 v21, v9, 0xbf1a4643, v17
	v_fma_f32 v17, 0xbf1a4643, v9, -v17
	v_add_f32_e32 v12, v15, v12
	v_mul_f32_e32 v15, 0xbeb8f4ab, v8
	v_add_f32_e32 v19, v19, v44
	v_add_f32_e32 v21, v36, v21
	v_fmamk_f32 v36, v9, 0xbe8c1d8e, v34
	v_add_f32_e32 v17, v18, v17
	v_fma_f32 v18, 0xbe8c1d8e, v9, -v34
	v_fmamk_f32 v34, v9, 0x3f6eb680, v15
	v_mul_f32_e32 v44, 0xbf06c442, v8
	v_fma_f32 v15, 0x3f6eb680, v9, -v15
	v_add_f32_e32 v28, v65, v28
	v_add_f32_e32 v18, v24, v18
	;; [unrolled: 1-line block ×3, first 2 shown]
	v_fmamk_f32 v25, v9, 0xbf59a7d5, v44
	v_mul_f32_e32 v34, 0x3f7ee86f, v8
	v_add_f32_e32 v36, v42, v36
	v_add_f32_e32 v15, v20, v15
	v_fma_f32 v20, 0xbf59a7d5, v9, -v44
	v_add_f32_e32 v25, v43, v25
	v_fmamk_f32 v43, v9, 0x3dbcf732, v34
	v_fma_f32 v34, 0x3dbcf732, v9, -v34
	v_mul_f32_e32 v42, 0xbf2c7751, v8
	v_sub_f32_e32 v2, v2, v10
	v_add_f32_e32 v20, v28, v20
	v_add_f32_e32 v3, v3, v11
	;; [unrolled: 1-line block ×3, first 2 shown]
	v_mul_f32_e32 v37, 0xbe3c28d5, v8
	v_fmamk_f32 v28, v9, 0x3f3d2fb0, v42
	v_fma_f32 v42, 0x3f3d2fb0, v9, -v42
	v_mul_f32_e32 v8, 0x3f65296c, v8
	v_mul_f32_e32 v11, 0xbf06c442, v2
	v_fmamk_f32 v10, v9, 0xbf7ba420, v37
	v_fma_f32 v37, 0xbf7ba420, v9, -v37
	v_add_f32_e32 v35, v35, v42
	v_fmamk_f32 v42, v9, 0x3ee437d1, v8
	v_fma_f32 v8, 0x3ee437d1, v9, -v8
	v_add_f32_e32 v10, v16, v10
	v_add_f32_e32 v9, v19, v37
	v_fmamk_f32 v16, v3, 0xbf59a7d5, v11
	v_mul_f32_e32 v19, 0x3f65296c, v2
	v_fma_f32 v11, 0xbf59a7d5, v3, -v11
	v_add_f32_e32 v8, v12, v8
	v_add_f32_e32 v78, v83, v78
	;; [unrolled: 1-line block ×3, first 2 shown]
	v_mul_f32_e32 v16, 0xbf7ee86f, v2
	v_fmamk_f32 v21, v3, 0x3ee437d1, v19
	v_fma_f32 v19, 0x3ee437d1, v3, -v19
	v_add_f32_e32 v11, v17, v11
	v_mul_f32_e32 v17, 0x3f4c4adb, v2
	v_fmamk_f32 v37, v3, 0x3dbcf732, v16
	v_add_f32_e32 v21, v36, v21
	v_add_f32_e32 v18, v18, v19
	v_fma_f32 v16, 0x3dbcf732, v3, -v16
	v_fmamk_f32 v19, v3, 0xbf1a4643, v17
	v_mul_f32_e32 v36, 0xbeb8f4ab, v2
	v_fma_f32 v17, 0xbf1a4643, v3, -v17
	v_add_f32_e32 v77, v78, v79
	v_add_f32_e32 v15, v15, v16
	;; [unrolled: 1-line block ×3, first 2 shown]
	v_fmamk_f32 v25, v3, 0x3f6eb680, v36
	v_add_f32_e32 v17, v20, v17
	v_fma_f32 v20, 0x3f6eb680, v3, -v36
	v_mul_f32_e32 v36, 0x3f2c7751, v2
	v_mul_f32_e32 v19, 0xbe3c28d5, v2
	;; [unrolled: 1-line block ×3, first 2 shown]
	v_sub_f32_e32 v4, v4, v6
	v_add_f32_e32 v20, v34, v20
	v_fmamk_f32 v34, v3, 0x3f3d2fb0, v36
	v_add_f32_e32 v69, v77, v69
	v_add_f32_e32 v13, v13, v42
	;; [unrolled: 1-line block ×3, first 2 shown]
	v_fmamk_f32 v37, v3, 0xbf7ba420, v19
	v_add_f32_e32 v6, v10, v34
	v_fma_f32 v10, 0x3f3d2fb0, v3, -v36
	v_fma_f32 v19, 0xbf7ba420, v3, -v19
	v_fmamk_f32 v34, v3, 0xbe8c1d8e, v2
	v_add_f32_e32 v5, v5, v7
	v_mul_f32_e32 v7, 0xbe3c28d5, v4
	v_fma_f32 v2, 0xbe8c1d8e, v3, -v2
	v_add_f32_e32 v3, v9, v10
	v_mul_f32_e32 v9, 0x3eb8f4ab, v4
	v_add_f32_e32 v65, v69, v66
	v_add_f32_e32 v10, v13, v34
	v_fmamk_f32 v13, v5, 0xbf7ba420, v7
	v_add_f32_e32 v2, v8, v2
	v_fma_f32 v7, 0xbf7ba420, v5, -v7
	v_fmamk_f32 v8, v5, 0x3f6eb680, v9
	v_mul_f32_e32 v34, 0xbf06c442, v4
	v_fma_f32 v9, 0x3f6eb680, v5, -v9
	v_add_f32_e32 v46, v47, v46
	v_add_f32_e32 v43, v65, v43
	;; [unrolled: 1-line block ×5, first 2 shown]
	v_fmamk_f32 v11, v5, 0xbf59a7d5, v34
	v_mul_f32_e32 v13, 0x3f2c7751, v4
	v_add_f32_e32 v9, v18, v9
	v_fma_f32 v18, 0xbf59a7d5, v5, -v34
	v_mul_f32_e32 v21, 0xbf4c4adb, v4
	v_add_f32_e32 v28, v46, v28
	v_add_f32_e32 v25, v43, v25
	;; [unrolled: 1-line block ×3, first 2 shown]
	v_fmamk_f32 v24, v5, 0x3f3d2fb0, v13
	v_fma_f32 v13, 0x3f3d2fb0, v5, -v13
	v_add_f32_e32 v15, v15, v18
	v_fmamk_f32 v18, v5, 0xbf1a4643, v21
	v_mul_f32_e32 v34, 0x3f65296c, v4
	v_add_f32_e32 v28, v28, v37
	v_add_f32_e32 v13, v17, v13
	v_fma_f32 v17, 0xbf1a4643, v5, -v21
	v_add_f32_e32 v18, v25, v18
	v_fmamk_f32 v21, v5, 0x3ee437d1, v34
	v_mul_f32_e32 v25, 0xbf763a35, v4
	v_add_f32_e32 v19, v35, v19
	v_add_f32_e32 v16, v16, v24
	v_fma_f32 v24, 0x3ee437d1, v5, -v34
	v_mul_f32_e32 v4, 0x3f7ee86f, v4
	v_add_f32_e32 v17, v20, v17
	v_add_f32_e32 v20, v28, v21
	v_fmamk_f32 v21, v5, 0xbe8c1d8e, v25
	v_add_f32_e32 v19, v19, v24
	v_fma_f32 v24, 0xbe8c1d8e, v5, -v25
	v_fmamk_f32 v25, v5, 0x3dbcf732, v4
	v_fma_f32 v4, 0x3dbcf732, v5, -v4
	v_add3_u32 v5, 0, v73, v72
	v_add_f32_e32 v6, v6, v21
	v_add_f32_e32 v3, v3, v24
	v_add_f32_e32 v10, v10, v25
	v_add_f32_e32 v2, v2, v4
	ds_write2_b32 v5, v29, v12 offset1:1
	ds_write2_b32 v5, v8, v11 offset0:2 offset1:3
	ds_write2_b32 v5, v16, v18 offset0:4 offset1:5
	;; [unrolled: 1-line block ×7, first 2 shown]
	ds_write_b32 v5, v7 offset:64
.LBB0_16:
	s_or_b32 exec_lo, exec_lo, s1
	v_mov_b32_e32 v15, 0
	v_add_nc_u32_e32 v36, 34, v71
	v_add_nc_u32_e32 v35, 51, v71
	;; [unrolled: 1-line block ×3, first 2 shown]
	s_waitcnt lgkmcnt(0)
	v_lshlrev_b64 v[2:3], 3, v[14:15]
	v_and_b32_e32 v4, 0xff, v36
	v_and_b32_e32 v5, 0xff, v35
	s_barrier
	buffer_gl0_inv
	v_and_b32_e32 v7, 0xff, v34
	v_add_co_u32 v2, s0, s8, v2
	v_add_co_ci_u32_e64 v3, s0, s9, v3, s0
	v_mul_lo_u16 v4, 0xf1, v4
	v_mul_lo_u16 v5, 0xf1, v5
	;; [unrolled: 1-line block ×3, first 2 shown]
	s_clause 0x1
	global_load_dwordx4 v[16:19], v[2:3], off
	global_load_dwordx4 v[42:45], v[2:3], off offset:16
	v_mov_b32_e32 v6, 5
	v_lshrrev_b16 v4, 12, v4
	v_lshrrev_b16 v5, 12, v5
	v_mov_b32_e32 v37, 2
	v_mul_lo_u16 v4, v4, 17
	v_mul_lo_u16 v5, v5, 17
	v_sub_nc_u16 v4, v36, v4
	v_sub_nc_u16 v9, v35, v5
	v_lshrrev_b16 v5, 12, v7
	v_lshlrev_b32_sdwa v8, v6, v4 dst_sel:DWORD dst_unused:UNUSED_PAD src0_sel:DWORD src1_sel:BYTE_0
	v_lshlrev_b32_sdwa v7, v6, v9 dst_sel:DWORD dst_unused:UNUSED_PAD src0_sel:DWORD src1_sel:BYTE_0
	v_mul_lo_u16 v5, v5, 17
	v_lshlrev_b32_sdwa v10, v37, v4 dst_sel:DWORD dst_unused:UNUSED_PAD src0_sel:DWORD src1_sel:BYTE_0
	v_lshlrev_b32_sdwa v9, v37, v9 dst_sel:DWORD dst_unused:UNUSED_PAD src0_sel:DWORD src1_sel:BYTE_0
	s_clause 0x1
	global_load_dwordx4 v[65:68], v8, s[8:9]
	global_load_dwordx4 v[77:80], v7, s[8:9]
	v_sub_nc_u16 v14, v34, v5
	global_load_dwordx4 v[73:76], v8, s[8:9] offset:16
	v_lshlrev_b32_sdwa v5, v6, v14 dst_sel:DWORD dst_unused:UNUSED_PAD src0_sel:DWORD src1_sel:BYTE_0
	s_clause 0x2
	global_load_dwordx4 v[81:84], v7, s[8:9] offset:16
	global_load_dwordx4 v[85:88], v5, s[8:9]
	global_load_dwordx4 v[89:92], v5, s[8:9] offset:16
	ds_read2_b32 v[11:12], v61 offset0:85 offset1:102
	ds_read2_b32 v[20:21], v61 offset0:153 offset1:170
	;; [unrolled: 1-line block ×4, first 2 shown]
	ds_read_b32 v13, v60
	ds_read2_b32 v[5:6], v61 offset0:17 offset1:34
	ds_read2_b32 v[46:47], v61 offset0:187 offset1:204
	;; [unrolled: 1-line block ×4, first 2 shown]
	v_lshlrev_b32_sdwa v4, v37, v14 dst_sel:DWORD dst_unused:UNUSED_PAD src0_sel:DWORD src1_sel:BYTE_0
	ds_read2_b32 v[97:98], v62 offset0:33 offset1:50
	ds_read2_b32 v[7:8], v61 offset0:51 offset1:68
	;; [unrolled: 1-line block ×4, first 2 shown]
	s_waitcnt vmcnt(0) lgkmcnt(0)
	s_barrier
	buffer_gl0_inv
	v_mul_f32_e32 v14, v11, v17
	v_mul_f32_e32 v37, v58, v17
	;; [unrolled: 1-line block ×16, first 2 shown]
	v_fma_f32 v14, v58, v16, -v14
	v_fmac_f32_e32 v37, v11, v16
	v_fma_f32 v11, v33, v18, -v69
	v_fmac_f32_e32 v103, v21, v18
	;; [unrolled: 2-line block ×8, first 2 shown]
	v_add_f32_e32 v25, v64, v14
	v_add_f32_e32 v31, v11, v21
	;; [unrolled: 1-line block ×3, first 2 shown]
	v_sub_f32_e32 v54, v11, v14
	v_sub_f32_e32 v56, v21, v24
	v_add_f32_e32 v57, v13, v37
	v_sub_f32_e32 v33, v37, v107
	v_sub_f32_e32 v42, v103, v105
	;; [unrolled: 1-line block ×4, first 2 shown]
	v_add_f32_e32 v58, v103, v105
	v_sub_f32_e32 v59, v14, v24
	v_sub_f32_e32 v69, v11, v21
	;; [unrolled: 1-line block ×3, first 2 shown]
	v_add_f32_e32 v104, v37, v107
	v_sub_f32_e32 v37, v103, v37
	v_add_f32_e32 v108, v26, v29
	v_sub_f32_e32 v110, v17, v45
	v_add_f32_e32 v117, v5, v17
	v_add_f32_e32 v11, v25, v11
	;; [unrolled: 1-line block ×3, first 2 shown]
	v_fma_f32 v31, -0.5, v31, v64
	v_fmac_f32_e32 v64, -0.5, v52
	v_sub_f32_e32 v52, v17, v19
	v_add_f32_e32 v54, v54, v56
	v_sub_f32_e32 v56, v45, v43
	v_add_f32_e32 v57, v57, v103
	v_add_f32_e32 v103, v17, v45
	v_sub_f32_e32 v17, v19, v17
	v_sub_f32_e32 v118, v43, v45
	;; [unrolled: 1-line block ×3, first 2 shown]
	v_add_f32_e32 v109, v12, v16
	v_sub_f32_e32 v112, v29, v12
	v_sub_f32_e32 v115, v12, v29
	v_add_f32_e32 v44, v44, v46
	v_sub_f32_e32 v46, v12, v16
	v_add_f32_e32 v12, v108, v12
	v_fma_f32 v108, -0.5, v25, v5
	v_add_f32_e32 v25, v52, v56
	v_fma_f32 v52, -0.5, v103, v5
	v_add_f32_e32 v5, v17, v118
	v_mul_f32_e32 v17, v95, v66
	v_mul_f32_e32 v56, v50, v66
	;; [unrolled: 1-line block ×3, first 2 shown]
	v_sub_f32_e32 v111, v19, v43
	v_add_f32_e32 v93, v14, v93
	v_fma_f32 v14, -0.5, v58, v13
	v_fma_f32 v58, -0.5, v109, v26
	v_add_f32_e32 v19, v117, v19
	v_mul_f32_e32 v68, v55, v68
	v_mul_f32_e32 v103, v97, v74
	;; [unrolled: 1-line block ×5, first 2 shown]
	v_fma_f32 v55, v55, v67, -v66
	v_mul_f32_e32 v66, v96, v78
	v_mul_f32_e32 v78, v51, v78
	v_add_f32_e32 v114, v29, v18
	v_sub_f32_e32 v29, v29, v18
	v_fmac_f32_e32 v13, -0.5, v104
	v_fmac_f32_e32 v68, v47, v67
	v_mul_f32_e32 v47, v99, v80
	v_mul_f32_e32 v67, v40, v80
	v_fma_f32 v17, v50, v65, -v17
	v_fmac_f32_e32 v56, v95, v65
	v_mul_f32_e32 v50, v98, v82
	v_mul_f32_e32 v65, v49, v82
	;; [unrolled: 1-line block ×4, first 2 shown]
	v_fma_f32 v53, v53, v75, -v109
	v_mul_f32_e32 v84, v20, v86
	v_mul_f32_e32 v86, v32, v86
	v_fmac_f32_e32 v76, v94, v75
	v_mul_f32_e32 v75, v100, v88
	v_fma_f32 v48, v48, v73, -v103
	v_fmac_f32_e32 v74, v97, v73
	v_mul_f32_e32 v73, v28, v90
	v_mul_f32_e32 v90, v30, v90
	v_mul_f32_e32 v94, v102, v92
	v_add_f32_e32 v12, v12, v16
	v_add_f32_e32 v19, v19, v43
	v_fmac_f32_e32 v78, v96, v77
	v_fmamk_f32 v96, v46, 0x3f737871, v52
	v_fmac_f32_e32 v52, 0xbf737871, v46
	v_sub_f32_e32 v106, v105, v107
	v_sub_f32_e32 v113, v18, v16
	;; [unrolled: 1-line block ×3, first 2 shown]
	v_mul_f32_e32 v88, v41, v88
	v_add_f32_e32 v11, v11, v21
	v_fmamk_f32 v21, v33, 0x3f737871, v31
	v_fmac_f32_e32 v31, 0xbf737871, v33
	v_add_f32_e32 v57, v57, v105
	v_fmamk_f32 v95, v42, 0xbf737871, v64
	v_fmac_f32_e32 v64, 0x3f737871, v42
	v_fma_f32 v51, v51, v77, -v66
	v_fmamk_f32 v66, v59, 0xbf737871, v14
	v_fmac_f32_e32 v14, 0x3f737871, v59
	v_fmamk_f32 v97, v69, 0x3f737871, v13
	v_fmac_f32_e32 v13, 0xbf737871, v69
	v_fma_f32 v32, v32, v85, -v84
	v_fmac_f32_e32 v86, v20, v85
	v_fma_f32 v20, v41, v87, -v75
	v_fma_f32 v30, v30, v89, -v73
	v_fmac_f32_e32 v90, v28, v89
	v_fma_f32 v28, v39, v91, -v94
	v_add_f32_e32 v12, v12, v18
	v_add_f32_e32 v41, v19, v45
	v_fmac_f32_e32 v96, 0xbf167918, v29
	v_fmac_f32_e32 v52, 0x3f167918, v29
	v_add_f32_e32 v18, v27, v17
	v_add_f32_e32 v19, v55, v48
	;; [unrolled: 1-line block ×3, first 2 shown]
	v_fma_f32 v40, v40, v79, -v47
	v_fma_f32 v47, v49, v81, -v50
	;; [unrolled: 1-line block ×3, first 2 shown]
	v_add_f32_e32 v37, v37, v106
	v_fma_f32 v26, -0.5, v114, v26
	v_mul_f32_e32 v92, v39, v92
	v_fmamk_f32 v16, v110, 0x3f737871, v58
	v_fmac_f32_e32 v58, 0xbf737871, v110
	v_fmamk_f32 v77, v29, 0xbf737871, v108
	v_fmac_f32_e32 v108, 0x3f737871, v29
	v_fmac_f32_e32 v67, v99, v79
	v_fmac_f32_e32 v65, v98, v81
	v_fmac_f32_e32 v82, v101, v83
	v_fmac_f32_e32 v88, v100, v87
	v_add_f32_e32 v11, v11, v24
	v_fmac_f32_e32 v21, 0x3f167918, v42
	v_fmac_f32_e32 v31, 0xbf167918, v42
	;; [unrolled: 1-line block ×4, first 2 shown]
	v_add_f32_e32 v39, v57, v107
	v_fmac_f32_e32 v66, 0xbf167918, v69
	v_fmac_f32_e32 v14, 0x3f167918, v69
	;; [unrolled: 1-line block ×4, first 2 shown]
	v_sub_f32_e32 v24, v56, v76
	v_sub_f32_e32 v29, v68, v74
	v_sub_f32_e32 v33, v17, v55
	v_sub_f32_e32 v42, v53, v48
	v_add_f32_e32 v50, v6, v56
	v_add_f32_e32 v57, v68, v74
	v_sub_f32_e32 v69, v56, v68
	v_sub_f32_e32 v73, v76, v74
	v_add_f32_e32 v75, v56, v76
	v_add_f32_e32 v98, v7, v78
	;; [unrolled: 1-line block ×5, first 2 shown]
	v_fmac_f32_e32 v96, 0x3e9e377a, v5
	v_fmac_f32_e32 v52, 0x3e9e377a, v5
	v_add_f32_e32 v5, v18, v55
	v_fma_f32 v18, -0.5, v19, v27
	v_fmac_f32_e32 v27, -0.5, v45
	v_add_f32_e32 v81, v40, v47
	v_add_f32_e32 v89, v51, v38
	v_fmamk_f32 v43, v111, 0xbf737871, v26
	v_fmac_f32_e32 v26, 0x3f737871, v111
	v_fmac_f32_e32 v92, v102, v91
	;; [unrolled: 1-line block ×6, first 2 shown]
	v_sub_f32_e32 v46, v55, v17
	v_sub_f32_e32 v49, v48, v53
	;; [unrolled: 1-line block ×3, first 2 shown]
	v_add_f32_e32 v80, v22, v51
	v_sub_f32_e32 v83, v78, v82
	v_sub_f32_e32 v84, v67, v65
	v_add_f32_e32 v99, v67, v65
	v_sub_f32_e32 v101, v78, v67
	v_add_f32_e32 v103, v78, v82
	v_sub_f32_e32 v78, v67, v78
	v_sub_f32_e32 v111, v88, v90
	v_fmac_f32_e32 v97, 0x3e9e377a, v37
	v_fmac_f32_e32 v13, 0x3e9e377a, v37
	v_add_f32_e32 v19, v33, v42
	v_add_f32_e32 v33, v50, v68
	v_fma_f32 v42, -0.5, v57, v6
	v_add_f32_e32 v37, v69, v73
	v_fmac_f32_e32 v6, -0.5, v75
	v_add_f32_e32 v50, v98, v67
	v_add_f32_e32 v57, v107, v20
	v_fma_f32 v67, -0.5, v109, v23
	v_fmac_f32_e32 v23, -0.5, v114
	v_add_f32_e32 v5, v5, v48
	v_fmamk_f32 v48, v24, 0x3f737871, v18
	v_fmac_f32_e32 v18, 0xbf737871, v24
	v_fmamk_f32 v73, v29, 0xbf737871, v27
	v_fmac_f32_e32 v27, 0x3f737871, v29
	v_sub_f32_e32 v56, v68, v56
	v_sub_f32_e32 v79, v74, v76
	;; [unrolled: 1-line block ×3, first 2 shown]
	v_fma_f32 v45, -0.5, v81, v22
	v_fma_f32 v22, -0.5, v89, v22
	v_add_f32_e32 v106, v115, v116
	v_fmac_f32_e32 v43, 0x3f167918, v110
	v_fmac_f32_e32 v26, 0xbf167918, v110
	v_sub_f32_e32 v17, v17, v53
	v_sub_f32_e32 v85, v51, v40
	;; [unrolled: 1-line block ×7, first 2 shown]
	v_add_f32_e32 v117, v8, v86
	v_add_f32_e32 v118, v88, v90
	v_fmac_f32_e32 v77, 0x3e9e377a, v25
	v_fmac_f32_e32 v108, 0x3e9e377a, v25
	v_add_f32_e32 v25, v46, v49
	v_add_f32_e32 v40, v80, v40
	v_fmamk_f32 v75, v59, 0x3f737871, v6
	v_fmac_f32_e32 v6, 0xbf737871, v59
	v_add_f32_e32 v57, v57, v30
	v_fmamk_f32 v81, v111, 0xbf737871, v23
	v_fmac_f32_e32 v23, 0x3f737871, v111
	v_fmac_f32_e32 v48, 0x3f167918, v29
	;; [unrolled: 1-line block ×5, first 2 shown]
	v_add_f32_e32 v29, v86, v92
	v_sub_f32_e32 v94, v47, v38
	v_fmac_f32_e32 v21, 0x3e9e377a, v44
	v_fmac_f32_e32 v31, 0x3e9e377a, v44
	v_add_f32_e32 v44, v56, v79
	v_add_f32_e32 v56, v78, v105
	v_fmamk_f32 v78, v84, 0xbf737871, v22
	v_fmac_f32_e32 v22, 0x3f737871, v84
	v_add_f32_e32 v104, v112, v113
	v_sub_f32_e32 v51, v51, v38
	v_fmac_f32_e32 v95, 0x3e9e377a, v54
	v_fmac_f32_e32 v64, 0x3e9e377a, v54
	v_fma_f32 v54, -0.5, v99, v7
	v_sub_f32_e32 v112, v32, v20
	v_sub_f32_e32 v113, v28, v30
	v_fma_f32 v69, -0.5, v118, v8
	v_add_f32_e32 v40, v40, v47
	v_fmac_f32_e32 v75, 0xbf167918, v17
	v_fmac_f32_e32 v6, 0x3f167918, v17
	v_add_f32_e32 v24, v57, v28
	v_fmac_f32_e32 v48, 0x3e9e377a, v19
	v_fmac_f32_e32 v18, 0x3e9e377a, v19
	;; [unrolled: 1-line block ×4, first 2 shown]
	v_sub_f32_e32 v19, v32, v28
	v_fmac_f32_e32 v81, 0x3f167918, v110
	v_add_f32_e32 v25, v115, v116
	v_fmac_f32_e32 v23, 0xbf167918, v110
	v_add_f32_e32 v28, v117, v88
	v_sub_f32_e32 v20, v20, v30
	v_fmac_f32_e32 v8, -0.5, v29
	v_sub_f32_e32 v87, v38, v47
	v_add_f32_e32 v49, v91, v94
	v_fmamk_f32 v47, v83, 0x3f737871, v45
	v_add_f32_e32 v50, v50, v65
	v_fmac_f32_e32 v78, 0x3f167918, v83
	v_fmac_f32_e32 v22, 0xbf167918, v83
	v_fma_f32 v7, -0.5, v103, v7
	v_fmac_f32_e32 v45, 0xbf737871, v83
	v_sub_f32_e32 v102, v82, v65
	v_fmac_f32_e32 v16, 0x3e9e377a, v104
	v_fmac_f32_e32 v43, 0x3e9e377a, v106
	v_fmamk_f32 v65, v51, 0xbf737871, v54
	v_fmac_f32_e32 v54, 0x3f737871, v51
	v_fmamk_f32 v80, v110, 0x3f737871, v67
	v_fmac_f32_e32 v58, 0x3e9e377a, v104
	v_fmac_f32_e32 v26, 0x3e9e377a, v106
	v_add_f32_e32 v33, v33, v74
	v_fmamk_f32 v74, v17, 0xbf737871, v42
	v_fmac_f32_e32 v42, 0x3f737871, v17
	v_fmac_f32_e32 v67, 0xbf737871, v110
	v_add_f32_e32 v17, v40, v38
	v_fmac_f32_e32 v75, 0x3e9e377a, v44
	v_fmac_f32_e32 v6, 0x3e9e377a, v44
	v_fmamk_f32 v40, v19, 0xbf737871, v69
	v_fmac_f32_e32 v81, 0x3e9e377a, v25
	v_fmac_f32_e32 v23, 0x3e9e377a, v25
	v_add_f32_e32 v25, v28, v90
	v_sub_f32_e32 v28, v86, v88
	v_sub_f32_e32 v29, v92, v90
	v_fmac_f32_e32 v69, 0x3f737871, v19
	v_fmamk_f32 v44, v20, 0x3f737871, v8
	v_sub_f32_e32 v30, v88, v86
	v_sub_f32_e32 v32, v90, v92
	v_fmac_f32_e32 v8, 0xbf737871, v20
	v_add_f32_e32 v46, v85, v87
	v_add_f32_e32 v5, v5, v53
	v_fmac_f32_e32 v47, 0x3f167918, v84
	v_add_f32_e32 v38, v50, v82
	v_fmac_f32_e32 v78, 0x3e9e377a, v49
	v_fmac_f32_e32 v22, 0x3e9e377a, v49
	v_add3_u32 v49, 0, v10, v72
	v_add3_u32 v50, 0, v9, v72
	v_fmamk_f32 v79, v100, 0x3f737871, v7
	v_fmac_f32_e32 v7, 0xbf737871, v100
	v_fmac_f32_e32 v45, 0xbf167918, v84
	v_add_f32_e32 v55, v101, v102
	v_add_f32_e32 v68, v112, v113
	v_fmac_f32_e32 v65, 0xbf167918, v100
	v_fmac_f32_e32 v54, 0x3f167918, v100
	;; [unrolled: 1-line block ×3, first 2 shown]
	ds_write2_b32 v61, v11, v21 offset1:17
	ds_write2_b32 v61, v95, v64 offset0:34 offset1:51
	ds_write2_b32 v61, v31, v12 offset0:68 offset1:85
	;; [unrolled: 1-line block ×4, first 2 shown]
	v_add3_u32 v43, 0, v4, v72
	v_fmac_f32_e32 v74, 0xbf167918, v59
	v_fmac_f32_e32 v42, 0x3f167918, v59
	;; [unrolled: 1-line block ×4, first 2 shown]
	v_add_f32_e32 v28, v28, v29
	v_fmac_f32_e32 v69, 0x3f167918, v20
	v_fmac_f32_e32 v44, 0xbf167918, v19
	v_add_f32_e32 v20, v30, v32
	v_fmac_f32_e32 v8, 0x3f167918, v19
	v_fmac_f32_e32 v47, 0x3e9e377a, v46
	ds_write2_b32 v49, v5, v48 offset0:170 offset1:187
	v_add_nc_u32_e32 v48, 0x200, v50
	v_fmac_f32_e32 v79, 0xbf167918, v51
	v_fmac_f32_e32 v7, 0x3f167918, v51
	v_add_nc_u32_e32 v51, 0x400, v50
	v_fmac_f32_e32 v45, 0x3e9e377a, v46
	v_fmac_f32_e32 v65, 0x3e9e377a, v55
	v_fmac_f32_e32 v54, 0x3e9e377a, v55
	v_fmac_f32_e32 v80, 0x3e9e377a, v68
	v_add_nc_u32_e32 v55, 0x400, v43
	v_add_f32_e32 v53, v33, v76
	v_fmac_f32_e32 v74, 0x3e9e377a, v37
	v_fmac_f32_e32 v42, 0x3e9e377a, v37
	;; [unrolled: 1-line block ×3, first 2 shown]
	v_add_f32_e32 v46, v25, v92
	v_fmac_f32_e32 v40, 0x3e9e377a, v28
	v_fmac_f32_e32 v69, 0x3e9e377a, v28
	;; [unrolled: 1-line block ×4, first 2 shown]
	ds_write2_b32 v49, v73, v27 offset0:204 offset1:221
	ds_write_b32 v49, v18 offset:952
	ds_write2_b32 v48, v17, v47 offset0:127 offset1:144
	ds_write2_b32 v51, v78, v22 offset0:33 offset1:50
	ds_write_b32 v50, v45 offset:1292
	ds_write2_b32 v55, v24, v80 offset0:84 offset1:101
	ds_write2_b32 v55, v81, v23 offset0:118 offset1:135
	ds_write_b32 v43, v67 offset:1632
	s_waitcnt lgkmcnt(0)
	s_barrier
	buffer_gl0_inv
	ds_read_b32 v37, v60
	ds_read2_b32 v[11:12], v61 offset0:85 offset1:102
	ds_read2_b32 v[30:31], v61 offset0:153 offset1:170
	;; [unrolled: 1-line block ×12, first 2 shown]
	v_fmac_f32_e32 v66, 0x3e9e377a, v93
	v_fmac_f32_e32 v14, 0x3e9e377a, v93
	;; [unrolled: 1-line block ×4, first 2 shown]
	s_waitcnt lgkmcnt(0)
	s_barrier
	buffer_gl0_inv
	ds_write2_b32 v61, v39, v66 offset1:17
	ds_write2_b32 v61, v97, v13 offset0:34 offset1:51
	ds_write2_b32 v61, v14, v41 offset0:68 offset1:85
	ds_write2_b32 v61, v77, v96 offset0:102 offset1:119
	ds_write2_b32 v61, v52, v108 offset0:136 offset1:153
	ds_write2_b32 v49, v53, v74 offset0:170 offset1:187
	ds_write2_b32 v49, v75, v6 offset0:204 offset1:221
	ds_write_b32 v49, v42 offset:952
	ds_write2_b32 v48, v38, v65 offset0:127 offset1:144
	ds_write2_b32 v51, v79, v7 offset0:33 offset1:50
	ds_write_b32 v50, v54 offset:1292
	ds_write2_b32 v55, v46, v40 offset0:84 offset1:101
	ds_write2_b32 v55, v44, v8 offset0:118 offset1:135
	ds_write_b32 v43, v69 offset:1632
	s_waitcnt lgkmcnt(0)
	s_barrier
	buffer_gl0_inv
	s_and_saveexec_b32 s0, vcc_lo
	s_cbranch_execz .LBB0_18
; %bb.17:
	v_lshlrev_b32_e32 v14, 2, v34
	s_clause 0x1
	global_load_dwordx4 v[38:41], v[2:3], off offset:544
	global_load_dwordx4 v[42:45], v[2:3], off offset:560
	v_add_nc_u32_e32 v6, 0x200, v61
	v_add_nc_u32_e32 v8, 0x400, v61
	v_lshlrev_b64 v[2:3], 3, v[14:15]
	v_lshlrev_b32_e32 v14, 2, v35
	v_add_co_u32 v2, vcc_lo, s8, v2
	v_add_co_ci_u32_e32 v3, vcc_lo, s9, v3, vcc_lo
	s_clause 0x1
	global_load_dwordx4 v[46:49], v[2:3], off offset:544
	global_load_dwordx4 v[50:53], v[2:3], off offset:560
	v_lshlrev_b64 v[2:3], 3, v[14:15]
	v_lshlrev_b32_e32 v14, 2, v36
	v_add_co_u32 v2, vcc_lo, s8, v2
	v_add_co_ci_u32_e32 v3, vcc_lo, s9, v3, vcc_lo
	s_clause 0x1
	global_load_dwordx4 v[54:57], v[2:3], off offset:544
	global_load_dwordx4 v[62:65], v[2:3], off offset:560
	;; [unrolled: 7-line block ×3, first 2 shown]
	v_lshlrev_b64 v[2:3], 3, v[14:15]
	v_add_co_u32 v2, vcc_lo, s8, v2
	v_add_co_ci_u32_e32 v3, vcc_lo, s9, v3, vcc_lo
	s_clause 0x1
	global_load_dwordx4 v[76:79], v[2:3], off offset:544
	global_load_dwordx4 v[80:83], v[2:3], off offset:560
	ds_read2_b32 v[2:3], v61 offset0:153 offset1:170
	ds_read2_b32 v[14:15], v6 offset0:127 offset1:144
	ds_read2_b32 v[58:59], v61 offset0:85 offset1:102
	ds_read2_b32 v[6:7], v8 offset0:67 offset1:84
	ds_read2_b32 v[84:85], v61 offset0:221 offset1:238
	ds_read2_b32 v[86:87], v61 offset0:51 offset1:68
	ds_read2_b32 v[88:89], v61 offset0:119 offset1:136
	ds_read2_b32 v[90:91], v61 offset0:187 offset1:204
	ds_read2_b32 v[92:93], v61 offset0:17 offset1:34
	ds_read_b32 v98, v60
	ds_read2_b32 v[60:61], v8 offset0:135 offset1:152
	ds_read2_b32 v[94:95], v8 offset0:33 offset1:50
	s_waitcnt vmcnt(9)
	v_mul_f32_e32 v99, v11, v39
	v_mul_f32_e32 v100, v31, v41
	s_waitcnt vmcnt(8)
	v_mul_f32_e32 v101, v33, v45
	v_mul_f32_e32 v102, v9, v43
	s_waitcnt lgkmcnt(11)
	v_mul_f32_e32 v13, v3, v41
	s_waitcnt lgkmcnt(10)
	;; [unrolled: 2-line block ×4, first 2 shown]
	v_mul_f32_e32 v43, v7, v45
	v_fmac_f32_e32 v99, v58, v38
	v_fmac_f32_e32 v100, v3, v40
	;; [unrolled: 1-line block ×4, first 2 shown]
	v_fma_f32 v58, v31, v40, -v13
	v_fma_f32 v103, v9, v42, -v41
	;; [unrolled: 1-line block ×4, first 2 shown]
	ds_read2_b32 v[38:39], v8 offset0:101 offset1:118
	v_sub_f32_e32 v3, v99, v100
	v_sub_f32_e32 v7, v101, v102
	v_add_f32_e32 v8, v100, v102
	v_sub_f32_e32 v9, v104, v58
	v_sub_f32_e32 v11, v105, v103
	v_add_f32_e32 v13, v58, v103
	v_add_f32_e32 v14, v99, v101
	;; [unrolled: 1-line block ×4, first 2 shown]
	s_waitcnt lgkmcnt(3)
	v_fma_f32 v41, -0.5, v8, v98
	v_add_f32_e32 v115, v9, v11
	v_fma_f32 v40, -0.5, v13, v37
	v_fma_f32 v43, -0.5, v14, v98
	;; [unrolled: 1-line block ×3, first 2 shown]
	s_waitcnt vmcnt(7)
	v_mul_f32_e32 v3, v30, v47
	v_mul_f32_e32 v8, v29, v49
	s_waitcnt vmcnt(6)
	v_mul_f32_e32 v11, v27, v53
	v_mul_f32_e32 v9, v32, v51
	;; [unrolled: 1-line block ×5, first 2 shown]
	s_waitcnt lgkmcnt(2)
	v_mul_f32_e32 v31, v61, v53
	v_fmac_f32_e32 v3, v2, v46
	v_fmac_f32_e32 v8, v85, v48
	;; [unrolled: 1-line block ×4, first 2 shown]
	v_fma_f32 v29, v29, v48, -v7
	v_fma_f32 v13, v32, v50, -v13
	;; [unrolled: 1-line block ×4, first 2 shown]
	s_waitcnt vmcnt(5)
	v_mul_f32_e32 v14, v25, v55
	v_mul_f32_e32 v30, v28, v57
	s_waitcnt vmcnt(4)
	v_mul_f32_e32 v31, v26, v65
	v_mul_f32_e32 v32, v23, v63
	;; [unrolled: 1-line block ×3, first 2 shown]
	s_waitcnt lgkmcnt(1)
	v_mul_f32_e32 v7, v95, v63
	v_mul_f32_e32 v33, v89, v55
	;; [unrolled: 1-line block ×3, first 2 shown]
	v_sub_f32_e32 v47, v3, v8
	v_sub_f32_e32 v48, v11, v9
	v_add_f32_e32 v51, v8, v9
	v_sub_f32_e32 v52, v2, v29
	v_sub_f32_e32 v53, v27, v13
	v_add_f32_e32 v55, v29, v13
	v_fmac_f32_e32 v30, v84, v56
	v_sub_f32_e32 v63, v8, v3
	v_fma_f32 v28, v28, v56, -v6
	v_sub_f32_e32 v6, v9, v11
	v_add_f32_e32 v56, v3, v11
	v_fmac_f32_e32 v14, v89, v54
	v_fma_f32 v25, v25, v54, -v33
	v_sub_f32_e32 v33, v29, v2
	v_sub_f32_e32 v54, v13, v27
	v_add_f32_e32 v65, v2, v27
	v_add_f32_e32 v84, v3, v87
	;; [unrolled: 1-line block ×3, first 2 shown]
	v_fmac_f32_e32 v31, v60, v64
	v_fmac_f32_e32 v32, v95, v62
	v_fma_f32 v60, v23, v62, -v7
	v_fma_f32 v46, v26, v64, -v46
	s_waitcnt vmcnt(3)
	v_mul_f32_e32 v26, v17, v69
	v_mul_f32_e32 v62, v24, v67
	s_waitcnt vmcnt(2)
	v_mul_f32_e32 v64, v22, v73
	v_mul_f32_e32 v89, v19, v75
	;; [unrolled: 1-line block ×3, first 2 shown]
	s_waitcnt lgkmcnt(0)
	v_mul_f32_e32 v67, v39, v75
	v_mul_f32_e32 v69, v91, v69
	;; [unrolled: 1-line block ×3, first 2 shown]
	v_sub_f32_e32 v49, v29, v13
	v_sub_f32_e32 v50, v2, v27
	;; [unrolled: 1-line block ×4, first 2 shown]
	v_add_f32_e32 v47, v47, v48
	v_fma_f32 v3, -0.5, v51, v87
	v_add_f32_e32 v48, v52, v53
	v_fma_f32 v2, -0.5, v55, v21
	;; [unrolled: 2-line block ×4, first 2 shown]
	v_add_f32_e32 v8, v8, v84
	v_add_f32_e32 v21, v85, v29
	v_sub_f32_e32 v29, v14, v30
	v_sub_f32_e32 v52, v31, v32
	;; [unrolled: 1-line block ×4, first 2 shown]
	v_fmac_f32_e32 v62, v88, v66
	v_add_f32_e32 v65, v28, v60
	v_fma_f32 v24, v24, v66, -v23
	v_fmac_f32_e32 v26, v91, v68
	v_fma_f32 v68, v17, v68, -v69
	v_add_f32_e32 v69, v14, v31
	v_sub_f32_e32 v85, v28, v25
	v_fmac_f32_e32 v64, v94, v72
	v_add_f32_e32 v88, v25, v46
	v_add_f32_e32 v91, v14, v86
	;; [unrolled: 1-line block ×3, first 2 shown]
	v_fmac_f32_e32 v89, v39, v74
	v_fma_f32 v19, v19, v74, -v67
	v_fma_f32 v39, v22, v72, -v73
	s_waitcnt vmcnt(1)
	v_mul_f32_e32 v72, v12, v77
	s_waitcnt vmcnt(0)
	v_mul_f32_e32 v74, v18, v83
	v_mul_f32_e32 v77, v59, v77
	;; [unrolled: 1-line block ×5, first 2 shown]
	v_sub_f32_e32 v53, v28, v60
	v_add_f32_e32 v55, v30, v32
	v_sub_f32_e32 v63, v46, v60
	v_sub_f32_e32 v66, v30, v32
	;; [unrolled: 1-line block ×4, first 2 shown]
	v_mul_f32_e32 v73, v10, v81
	v_add_f32_e32 v94, v9, v8
	v_mul_f32_e32 v81, v15, v81
	v_add_f32_e32 v95, v21, v13
	v_add_f32_e32 v52, v29, v52
	v_fmamk_f32 v8, v57, 0xbf737871, v2
	v_fma_f32 v22, -0.5, v65, v20
	v_fmamk_f32 v13, v61, 0x3f737871, v6
	v_fmac_f32_e32 v6, 0xbf737871, v61
	v_fmac_f32_e32 v2, 0x3f737871, v57
	v_fma_f32 v21, -0.5, v69, v86
	v_fma_f32 v20, -0.5, v88, v20
	v_add_f32_e32 v29, v30, v91
	v_add_f32_e32 v25, v25, v28
	v_sub_f32_e32 v28, v26, v62
	v_sub_f32_e32 v30, v64, v89
	;; [unrolled: 1-line block ×3, first 2 shown]
	v_add_f32_e32 v69, v62, v89
	v_add_f32_e32 v88, v62, v93
	v_fmac_f32_e32 v72, v59, v76
	v_sub_f32_e32 v59, v68, v24
	v_add_f32_e32 v91, v24, v19
	v_fmac_f32_e32 v74, v38, v82
	v_sub_f32_e32 v38, v24, v68
	v_fma_f32 v12, v12, v76, -v77
	v_add_f32_e32 v76, v68, v39
	v_add_f32_e32 v24, v5, v24
	v_sub_f32_e32 v17, v32, v31
	v_fmac_f32_e32 v67, v90, v78
	v_sub_f32_e32 v90, v39, v19
	v_fma_f32 v77, v18, v82, -v83
	v_fma_f32 v78, v16, v78, -v79
	v_fmamk_f32 v9, v50, 0x3f737871, v3
	v_add_f32_e32 v56, v56, v63
	v_fmac_f32_e32 v3, 0xbf737871, v50
	v_add_f32_e32 v63, v85, v87
	v_sub_f32_e32 v85, v62, v26
	v_add_f32_e32 v87, v26, v64
	v_sub_f32_e32 v116, v26, v64
	v_fma_f32 v79, v10, v80, -v81
	v_fmac_f32_e32 v8, 0xbf167918, v61
	v_fmac_f32_e32 v13, 0xbf167918, v57
	;; [unrolled: 1-line block ×4, first 2 shown]
	v_add_f32_e32 v10, v27, v95
	v_add_f32_e32 v57, v28, v30
	v_fma_f32 v27, -0.5, v69, v93
	v_add_f32_e32 v30, v26, v88
	v_fma_f32 v26, -0.5, v91, v5
	v_fma_f32 v28, -0.5, v76, v5
	v_add_f32_e32 v5, v68, v24
	v_add_f32_e32 v69, v72, v74
	v_fma_f32 v23, -0.5, v55, v86
	v_add_f32_e32 v55, v84, v17
	v_sub_f32_e32 v84, v68, v39
	v_sub_f32_e32 v86, v89, v64
	v_fmac_f32_e32 v73, v15, v80
	v_sub_f32_e32 v117, v19, v39
	v_add_f32_e32 v59, v59, v90
	v_sub_f32_e32 v68, v12, v77
	v_sub_f32_e32 v80, v78, v12
	v_add_f32_e32 v82, v12, v77
	v_sub_f32_e32 v90, v12, v78
	v_add_f32_e32 v12, v4, v12
	v_sub_f32_e32 v75, v14, v31
	v_fmamk_f32 v14, v49, 0xbf737871, v7
	v_fmac_f32_e32 v7, 0x3f737871, v49
	v_fmac_f32_e32 v9, 0x3f167918, v49
	;; [unrolled: 1-line block ×3, first 2 shown]
	v_add_f32_e32 v49, v25, v60
	v_sub_f32_e32 v76, v78, v79
	v_fmac_f32_e32 v8, 0x3e9e377a, v48
	v_fmac_f32_e32 v2, 0x3e9e377a, v48
	v_add_f32_e32 v48, v5, v39
	v_fma_f32 v39, -0.5, v69, v92
	v_sub_f32_e32 v106, v58, v103
	v_fmamk_f32 v16, v54, 0x3f737871, v23
	v_fmac_f32_e32 v23, 0xbf737871, v54
	v_add_f32_e32 v60, v85, v86
	v_add_f32_e32 v61, v38, v117
	v_sub_f32_e32 v38, v67, v72
	v_sub_f32_e32 v85, v72, v74
	v_sub_f32_e32 v86, v72, v67
	v_add_f32_e32 v72, v72, v92
	v_add_f32_e32 v12, v78, v12
	v_fmac_f32_e32 v14, 0x3f167918, v50
	v_fmac_f32_e32 v7, 0xbf167918, v50
	v_fmamk_f32 v18, v53, 0xbf737871, v21
	v_fmac_f32_e32 v21, 0x3f737871, v53
	v_sub_f32_e32 v50, v73, v74
	v_add_f32_e32 v24, v46, v49
	v_fmamk_f32 v49, v76, 0xbf737871, v39
	v_fmac_f32_e32 v39, 0x3f737871, v76
	v_sub_f32_e32 v107, v104, v105
	v_sub_f32_e32 v110, v100, v99
	;; [unrolled: 1-line block ×3, first 2 shown]
	v_fmamk_f32 v97, v106, 0xbf737871, v43
	v_add_f32_e32 v32, v32, v29
	v_fma_f32 v29, -0.5, v87, v93
	v_fmac_f32_e32 v16, 0x3f167918, v53
	v_fmac_f32_e32 v23, 0xbf167918, v53
	v_add_f32_e32 v46, v64, v30
	v_add_f32_e32 v53, v67, v72
	;; [unrolled: 1-line block ×3, first 2 shown]
	v_fmac_f32_e32 v43, 0x3f737871, v106
	v_fmac_f32_e32 v18, 0x3f167918, v54
	;; [unrolled: 1-line block ×3, first 2 shown]
	v_add_f32_e32 v54, v38, v50
	v_fmac_f32_e32 v49, 0x3f167918, v68
	v_fmac_f32_e32 v39, 0xbf167918, v68
	v_fmamk_f32 v15, v75, 0xbf737871, v22
	v_fmac_f32_e32 v22, 0x3f737871, v75
	v_fmac_f32_e32 v9, 0x3e9e377a, v47
	;; [unrolled: 1-line block ×5, first 2 shown]
	v_add_f32_e32 v25, v31, v32
	v_fmamk_f32 v31, v84, 0xbf737871, v27
	v_fmac_f32_e32 v27, 0x3f737871, v84
	v_fmamk_f32 v33, v65, 0x3f737871, v29
	v_fmac_f32_e32 v29, 0xbf737871, v65
	v_fmac_f32_e32 v16, 0x3e9e377a, v52
	;; [unrolled: 1-line block ×3, first 2 shown]
	v_add_f32_e32 v47, v89, v46
	v_add_f32_e32 v46, v48, v19
	;; [unrolled: 1-line block ×5, first 2 shown]
	v_fmac_f32_e32 v97, 0x3f167918, v107
	v_fmac_f32_e32 v43, 0xbf167918, v107
	;; [unrolled: 1-line block ×6, first 2 shown]
	v_mad_u64_u32 v[54:55], null, s2, v71, 0
	v_sub_f32_e32 v62, v62, v89
	v_fmac_f32_e32 v15, 0xbf167918, v66
	v_fmac_f32_e32 v22, 0x3f167918, v66
	v_fmamk_f32 v30, v116, 0x3f737871, v26
	v_fmac_f32_e32 v26, 0xbf737871, v116
	v_fmac_f32_e32 v31, 0x3f167918, v65
	;; [unrolled: 1-line block ×5, first 2 shown]
	v_add_f32_e32 v53, v74, v19
	v_fmac_f32_e32 v97, 0x3e9e377a, v12
	v_fmac_f32_e32 v43, 0x3e9e377a, v12
	v_add_f32_e32 v12, v99, v98
	v_add_f32_e32 v19, v37, v104
	v_add_nc_u32_e32 v37, 0x55, v71
	v_add_f32_e32 v93, v78, v79
	v_fmamk_f32 v17, v66, 0x3f737871, v20
	v_fmac_f32_e32 v20, 0xbf737871, v66
	v_fmac_f32_e32 v15, 0x3e9e377a, v56
	;; [unrolled: 1-line block ×9, first 2 shown]
	v_add_f32_e32 v60, v100, v12
	v_mov_b32_e32 v12, v55
	v_mad_u64_u32 v[56:57], null, s2, v37, 0
	v_fma_f32 v38, -0.5, v82, v4
	v_fma_f32 v4, -0.5, v93, v4
	v_sub_f32_e32 v112, v58, v104
	v_fmac_f32_e32 v17, 0xbf167918, v75
	v_fmac_f32_e32 v20, 0x3f167918, v75
	v_fmamk_f32 v32, v62, 0xbf737871, v28
	v_fmac_f32_e32 v28, 0x3f737871, v62
	v_fmac_f32_e32 v30, 0x3e9e377a, v59
	;; [unrolled: 1-line block ×3, first 2 shown]
	v_add_f32_e32 v19, v19, v58
	v_mad_u64_u32 v[58:59], null, s3, v71, v[12:13]
	v_add_f32_e32 v88, v67, v73
	v_sub_f32_e32 v83, v67, v73
	v_sub_f32_e32 v91, v77, v79
	v_fmamk_f32 v50, v85, 0x3f737871, v4
	v_fmac_f32_e32 v4, 0xbf737871, v85
	v_add_f32_e32 v55, v102, v60
	v_mov_b32_e32 v12, v57
	v_fmac_f32_e32 v17, 0x3e9e377a, v63
	v_fmac_f32_e32 v20, 0x3e9e377a, v63
	;; [unrolled: 1-line block ×4, first 2 shown]
	v_add_nc_u32_e32 v63, 0xff, v71
	v_fma_f32 v5, -0.5, v88, v92
	v_add_f32_e32 v69, v90, v91
	v_fmac_f32_e32 v50, 0x3f167918, v83
	v_fmac_f32_e32 v4, 0xbf167918, v83
	v_add_f32_e32 v60, v101, v55
	v_mov_b32_e32 v55, v58
	v_mad_u64_u32 v[57:58], null, s3, v37, v[12:13]
	v_add_nc_u32_e32 v37, 0xaa, v71
	v_fmac_f32_e32 v32, 0x3e9e377a, v61
	v_fmac_f32_e32 v28, 0x3e9e377a, v61
	v_mad_u64_u32 v[61:62], null, s2, v63, 0
	v_fmac_f32_e32 v14, 0x3e9e377a, v51
	v_fmac_f32_e32 v7, 0x3e9e377a, v51
	v_fmamk_f32 v51, v68, 0xbf737871, v5
	v_fmac_f32_e32 v5, 0x3f737871, v68
	v_add_co_u32 v68, vcc_lo, s12, v0
	v_fmac_f32_e32 v50, 0x3e9e377a, v69
	v_fmac_f32_e32 v4, 0x3e9e377a, v69
	v_add_f32_e32 v19, v19, v103
	v_add_co_ci_u32_e32 v69, vcc_lo, s13, v1, vcc_lo
	v_lshlrev_b64 v[0:1], 3, v[54:55]
	v_mad_u64_u32 v[54:55], null, s2, v37, 0
	v_sub_f32_e32 v81, v79, v77
	v_fmamk_f32 v48, v83, 0x3f737871, v38
	v_fmac_f32_e32 v38, 0xbf737871, v83
	v_add_f32_e32 v59, v105, v19
	v_mov_b32_e32 v19, v62
	v_sub_f32_e32 v108, v99, v101
	v_add_f32_e32 v64, v80, v81
	v_fmac_f32_e32 v48, 0xbf167918, v85
	v_fmac_f32_e32 v38, 0x3f167918, v85
	v_add_nc_u32_e32 v72, 0x154, v71
	v_mov_b32_e32 v12, v55
	v_mad_u64_u32 v[62:63], null, s3, v63, v[19:20]
	v_sub_f32_e32 v109, v100, v102
	v_fmamk_f32 v45, v107, 0x3f737871, v41
	v_fmamk_f32 v44, v108, 0xbf737871, v40
	v_sub_f32_e32 v87, v74, v73
	v_fmac_f32_e32 v48, 0x3e9e377a, v64
	v_fmac_f32_e32 v38, 0x3e9e377a, v64
	;; [unrolled: 1-line block ×4, first 2 shown]
	v_mad_u64_u32 v[63:64], null, s2, v72, 0
	v_add_co_u32 v0, vcc_lo, v68, v0
	v_lshlrev_b64 v[55:56], 3, v[56:57]
	v_mad_u64_u32 v[57:58], null, s3, v37, v[12:13]
	v_add_co_ci_u32_e32 v1, vcc_lo, v69, v1, vcc_lo
	v_add_f32_e32 v66, v86, v87
	v_fmac_f32_e32 v51, 0xbf167918, v76
	v_fmac_f32_e32 v5, 0x3f167918, v76
	;; [unrolled: 1-line block ×4, first 2 shown]
	v_add_co_u32 v65, vcc_lo, v68, v55
	global_store_dwordx2 v[0:1], v[59:60], off
	v_mov_b32_e32 v0, v64
	v_fmac_f32_e32 v51, 0x3e9e377a, v66
	v_fmac_f32_e32 v5, 0x3e9e377a, v66
	;; [unrolled: 1-line block ×4, first 2 shown]
	v_add_co_ci_u32_e32 v66, vcc_lo, v69, v56, vcc_lo
	v_mov_b32_e32 v55, v57
	v_mad_u64_u32 v[0:1], null, s3, v72, v[0:1]
	global_store_dwordx2 v[65:66], v[40:41], off
	v_add_nc_u32_e32 v12, 0x66, v71
	v_lshlrev_b64 v[40:41], 3, v[54:55]
	v_mad_u64_u32 v[54:55], null, s2, v70, 0
	v_lshlrev_b64 v[56:57], 3, v[61:62]
	v_mov_b32_e32 v64, v0
	v_mad_u64_u32 v[58:59], null, s2, v12, 0
	v_add_co_u32 v40, vcc_lo, v68, v40
	v_mov_b32_e32 v0, v55
	v_lshlrev_b64 v[60:61], 3, v[63:64]
	v_sub_f32_e32 v113, v103, v105
	v_fmamk_f32 v96, v109, 0x3f737871, v42
	v_fmac_f32_e32 v42, 0xbf737871, v109
	v_add_co_ci_u32_e32 v41, vcc_lo, v69, v41, vcc_lo
	v_mad_u64_u32 v[0:1], null, s3, v70, v[0:1]
	v_add_co_u32 v56, vcc_lo, v68, v56
	v_mov_b32_e32 v1, v59
	v_add_nc_u32_e32 v19, 0xbb, v71
	v_add_co_ci_u32_e32 v57, vcc_lo, v69, v57, vcc_lo
	v_add_co_u32 v59, vcc_lo, v68, v60
	v_add_f32_e32 v67, v112, v113
	v_fmac_f32_e32 v42, 0x3f167918, v108
	v_fmac_f32_e32 v96, 0xbf167918, v108
	v_add_co_ci_u32_e32 v60, vcc_lo, v69, v61, vcc_lo
	v_mad_u64_u32 v[61:62], null, s3, v12, v[1:2]
	v_fmac_f32_e32 v45, 0x3f167918, v106
	v_fmac_f32_e32 v44, 0xbf167918, v109
	v_mad_u64_u32 v[62:63], null, s2, v19, 0
	v_fmac_f32_e32 v42, 0x3e9e377a, v67
	v_add_nc_u32_e32 v37, 0x110, v71
	v_fmac_f32_e32 v96, 0x3e9e377a, v67
	v_fmac_f32_e32 v45, 0x3e9e377a, v114
	;; [unrolled: 1-line block ×3, first 2 shown]
	v_mov_b32_e32 v55, v0
	global_store_dwordx2 v[40:41], v[42:43], off
	global_store_dwordx2 v[56:57], v[96:97], off
	;; [unrolled: 1-line block ×3, first 2 shown]
	v_mov_b32_e32 v59, v61
	v_mov_b32_e32 v12, v63
	v_mad_u64_u32 v[40:41], null, s2, v37, 0
	v_lshlrev_b64 v[0:1], 3, v[54:55]
	v_lshlrev_b64 v[42:43], 3, v[58:59]
	v_add_nc_u32_e32 v58, 0x165, v71
	v_mad_u64_u32 v[44:45], null, s3, v19, v[12:13]
	v_mul_hi_u32 v19, 0xc0c0c0c1, v36
	v_mov_b32_e32 v12, v41
	v_add_co_u32 v0, vcc_lo, v68, v0
	v_mad_u64_u32 v[54:55], null, s2, v58, 0
	v_add_co_ci_u32_e32 v1, vcc_lo, v69, v1, vcc_lo
	v_add_co_u32 v41, vcc_lo, v68, v42
	v_mad_u64_u32 v[56:57], null, s3, v37, v[12:13]
	v_lshrrev_b32_e32 v12, 6, v19
	v_add_co_ci_u32_e32 v42, vcc_lo, v69, v43, vcc_lo
	global_store_dwordx2 v[0:1], v[52:53], off
	global_store_dwordx2 v[41:42], v[50:51], off
	v_mov_b32_e32 v0, v55
	v_mad_u32_u24 v12, 0x154, v12, v36
	v_mov_b32_e32 v63, v44
	v_mov_b32_e32 v41, v56
	v_add_f32_e32 v11, v11, v94
	v_mad_u64_u32 v[0:1], null, s3, v58, v[0:1]
	v_mad_u64_u32 v[36:37], null, s2, v12, 0
	v_add_nc_u32_e32 v19, 0x55, v12
	v_lshlrev_b64 v[42:43], 3, v[62:63]
	v_lshlrev_b64 v[40:41], 3, v[40:41]
	v_mov_b32_e32 v55, v0
	v_mad_u64_u32 v[44:45], null, s2, v19, 0
	v_mov_b32_e32 v0, v37
	v_add_co_u32 v42, vcc_lo, v68, v42
	v_lshlrev_b64 v[50:51], 3, v[54:55]
	v_add_nc_u32_e32 v55, 0xaa, v12
	v_mad_u64_u32 v[0:1], null, s3, v12, v[0:1]
	v_mov_b32_e32 v1, v45
	v_add_co_ci_u32_e32 v43, vcc_lo, v69, v43, vcc_lo
	v_add_co_u32 v40, vcc_lo, v68, v40
	v_mad_u64_u32 v[52:53], null, s3, v19, v[1:2]
	v_mad_u64_u32 v[53:54], null, s2, v55, 0
	v_mov_b32_e32 v37, v0
	v_add_nc_u32_e32 v19, 0xff, v12
	v_add_co_ci_u32_e32 v41, vcc_lo, v69, v41, vcc_lo
	v_add_co_u32 v50, vcc_lo, v68, v50
	v_add_co_ci_u32_e32 v51, vcc_lo, v69, v51, vcc_lo
	v_lshlrev_b64 v[0:1], 3, v[36:37]
	v_mov_b32_e32 v45, v52
	v_mad_u64_u32 v[36:37], null, s2, v19, 0
	global_store_dwordx2 v[42:43], v[38:39], off
	global_store_dwordx2 v[40:41], v[48:49], off
	;; [unrolled: 1-line block ×3, first 2 shown]
	v_mov_b32_e32 v4, v54
	v_lshlrev_b64 v[38:39], 3, v[44:45]
	v_add_nc_u32_e32 v12, 0x154, v12
	v_mul_hi_u32 v44, 0xc0c0c0c1, v35
	v_add_co_u32 v0, vcc_lo, v68, v0
	v_mad_u64_u32 v[4:5], null, s3, v55, v[4:5]
	v_mov_b32_e32 v5, v37
	v_mad_u64_u32 v[40:41], null, s2, v12, 0
	v_add_co_ci_u32_e32 v1, vcc_lo, v69, v1, vcc_lo
	v_add_co_u32 v37, vcc_lo, v68, v38
	v_mad_u64_u32 v[42:43], null, s3, v19, v[5:6]
	v_lshrrev_b32_e32 v19, 6, v44
	v_add_co_ci_u32_e32 v38, vcc_lo, v69, v39, vcc_lo
	global_store_dwordx2 v[0:1], v[46:47], off
	global_store_dwordx2 v[37:38], v[28:29], off
	v_mov_b32_e32 v0, v41
	v_mad_u32_u24 v19, 0x154, v19, v35
	v_mov_b32_e32 v54, v4
	v_mov_b32_e32 v37, v42
	v_mad_u64_u32 v[0:1], null, s3, v12, v[0:1]
	v_mad_u64_u32 v[28:29], null, s2, v19, 0
	v_add_nc_u32_e32 v12, 0x55, v19
	v_lshlrev_b64 v[4:5], 3, v[53:54]
	v_lshlrev_b64 v[35:36], 3, v[36:37]
	v_mov_b32_e32 v41, v0
	v_mad_u64_u32 v[37:38], null, s2, v12, 0
	v_mov_b32_e32 v0, v29
	v_add_co_u32 v4, vcc_lo, v68, v4
	v_add_co_ci_u32_e32 v5, vcc_lo, v69, v5, vcc_lo
	v_add_co_u32 v35, vcc_lo, v68, v35
	v_lshlrev_b64 v[39:40], 3, v[40:41]
	v_mad_u64_u32 v[0:1], null, s3, v19, v[0:1]
	v_add_co_ci_u32_e32 v36, vcc_lo, v69, v36, vcc_lo
	v_mov_b32_e32 v1, v38
	global_store_dwordx2 v[4:5], v[26:27], off
	global_store_dwordx2 v[35:36], v[30:31], off
	v_add_co_u32 v4, vcc_lo, v68, v39
	v_add_co_ci_u32_e32 v5, vcc_lo, v69, v40, vcc_lo
	v_mov_b32_e32 v29, v0
	v_mad_u64_u32 v[0:1], null, s3, v12, v[1:2]
	v_add_nc_u32_e32 v12, 0xaa, v19
	v_add_nc_u32_e32 v35, 0xff, v19
	global_store_dwordx2 v[4:5], v[32:33], off
	v_lshlrev_b64 v[4:5], 3, v[28:29]
	v_add_nc_u32_e32 v19, 0x154, v19
	v_mad_u64_u32 v[26:27], null, s2, v12, 0
	v_mad_u64_u32 v[28:29], null, s2, v35, 0
	v_mov_b32_e32 v38, v0
	v_add_co_u32 v0, vcc_lo, v68, v4
	v_add_co_ci_u32_e32 v1, vcc_lo, v69, v5, vcc_lo
	v_mov_b32_e32 v4, v27
	v_mov_b32_e32 v5, v29
	v_lshlrev_b64 v[30:31], 3, v[37:38]
	global_store_dwordx2 v[0:1], v[24:25], off
	v_mad_u64_u32 v[32:33], null, s3, v12, v[4:5]
	v_mad_u64_u32 v[4:5], null, s3, v35, v[5:6]
	;; [unrolled: 1-line block ×3, first 2 shown]
	v_mul_hi_u32 v12, 0xc0c0c0c1, v34
	v_add_co_u32 v30, vcc_lo, v68, v30
	v_mov_b32_e32 v27, v32
	v_add_co_ci_u32_e32 v31, vcc_lo, v69, v31, vcc_lo
	v_mov_b32_e32 v0, v36
	v_mov_b32_e32 v29, v4
	v_lshlrev_b64 v[4:5], 3, v[26:27]
	global_store_dwordx2 v[30:31], v[22:23], off
	v_mad_u64_u32 v[0:1], null, s3, v19, v[0:1]
	v_lshrrev_b32_e32 v1, 6, v12
	v_lshlrev_b64 v[22:23], 3, v[28:29]
	v_add_co_u32 v4, vcc_lo, v68, v4
	v_add_co_ci_u32_e32 v5, vcc_lo, v69, v5, vcc_lo
	v_mad_u32_u24 v25, 0x154, v1, v34
	v_add_co_u32 v22, vcc_lo, v68, v22
	v_add_co_ci_u32_e32 v23, vcc_lo, v69, v23, vcc_lo
	v_add_nc_u32_e32 v24, 0x55, v25
	global_store_dwordx2 v[4:5], v[20:21], off
	v_add_nc_u32_e32 v26, 0xaa, v25
	global_store_dwordx2 v[22:23], v[17:18], off
	v_mov_b32_e32 v36, v0
	v_mad_u64_u32 v[17:18], null, s2, v24, 0
	v_mad_u64_u32 v[0:1], null, s2, v25, 0
	;; [unrolled: 1-line block ×3, first 2 shown]
	v_lshlrev_b64 v[4:5], 3, v[35:36]
	v_add_nc_u32_e32 v28, 0xff, v25
	v_mov_b32_e32 v12, v18
	v_mad_u64_u32 v[21:22], null, s3, v25, v[1:2]
	v_mov_b32_e32 v1, v20
	v_mad_u64_u32 v[22:23], null, s3, v24, v[12:13]
	v_mad_u64_u32 v[23:24], null, s2, v28, 0
	v_add_co_u32 v4, vcc_lo, v68, v4
	v_add_nc_u32_e32 v12, 0x154, v25
	v_add_co_ci_u32_e32 v5, vcc_lo, v69, v5, vcc_lo
	v_mad_u64_u32 v[25:26], null, s3, v26, v[1:2]
	v_mad_u64_u32 v[26:27], null, s2, v12, 0
	global_store_dwordx2 v[4:5], v[15:16], off
	v_mov_b32_e32 v4, v24
	v_mov_b32_e32 v1, v21
	;; [unrolled: 1-line block ×4, first 2 shown]
	v_mad_u64_u32 v[4:5], null, s3, v28, v[4:5]
	v_mov_b32_e32 v5, v27
	v_lshlrev_b64 v[0:1], 3, v[0:1]
	v_lshlrev_b64 v[15:16], 3, v[17:18]
	v_mad_u64_u32 v[17:18], null, s3, v12, v[5:6]
	v_add_co_u32 v0, vcc_lo, v68, v0
	v_lshlrev_b64 v[18:19], 3, v[19:20]
	v_mov_b32_e32 v24, v4
	v_add_co_ci_u32_e32 v1, vcc_lo, v69, v1, vcc_lo
	v_add_co_u32 v4, vcc_lo, v68, v15
	v_mov_b32_e32 v27, v17
	v_add_co_ci_u32_e32 v5, vcc_lo, v69, v16, vcc_lo
	v_lshlrev_b64 v[15:16], 3, v[23:24]
	v_add_co_u32 v17, vcc_lo, v68, v18
	v_add_co_ci_u32_e32 v18, vcc_lo, v69, v19, vcc_lo
	v_lshlrev_b64 v[19:20], 3, v[26:27]
	v_add_co_u32 v15, vcc_lo, v68, v15
	v_add_co_ci_u32_e32 v16, vcc_lo, v69, v16, vcc_lo
	v_add_co_u32 v19, vcc_lo, v68, v19
	v_add_co_ci_u32_e32 v20, vcc_lo, v69, v20, vcc_lo
	global_store_dwordx2 v[0:1], v[10:11], off
	global_store_dwordx2 v[4:5], v[2:3], off
	;; [unrolled: 1-line block ×5, first 2 shown]
.LBB0_18:
	s_endpgm
	.section	.rodata,"a",@progbits
	.p2align	6, 0x0
	.amdhsa_kernel fft_rtc_fwd_len425_factors_17_5_5_wgs_51_tpt_17_halfLds_sp_ip_CI_sbrr_dirReg
		.amdhsa_group_segment_fixed_size 0
		.amdhsa_private_segment_fixed_size 0
		.amdhsa_kernarg_size 88
		.amdhsa_user_sgpr_count 6
		.amdhsa_user_sgpr_private_segment_buffer 1
		.amdhsa_user_sgpr_dispatch_ptr 0
		.amdhsa_user_sgpr_queue_ptr 0
		.amdhsa_user_sgpr_kernarg_segment_ptr 1
		.amdhsa_user_sgpr_dispatch_id 0
		.amdhsa_user_sgpr_flat_scratch_init 0
		.amdhsa_user_sgpr_private_segment_size 0
		.amdhsa_wavefront_size32 1
		.amdhsa_uses_dynamic_stack 0
		.amdhsa_system_sgpr_private_segment_wavefront_offset 0
		.amdhsa_system_sgpr_workgroup_id_x 1
		.amdhsa_system_sgpr_workgroup_id_y 0
		.amdhsa_system_sgpr_workgroup_id_z 0
		.amdhsa_system_sgpr_workgroup_info 0
		.amdhsa_system_vgpr_workitem_id 0
		.amdhsa_next_free_vgpr 119
		.amdhsa_next_free_sgpr 23
		.amdhsa_reserve_vcc 1
		.amdhsa_reserve_flat_scratch 0
		.amdhsa_float_round_mode_32 0
		.amdhsa_float_round_mode_16_64 0
		.amdhsa_float_denorm_mode_32 3
		.amdhsa_float_denorm_mode_16_64 3
		.amdhsa_dx10_clamp 1
		.amdhsa_ieee_mode 1
		.amdhsa_fp16_overflow 0
		.amdhsa_workgroup_processor_mode 1
		.amdhsa_memory_ordered 1
		.amdhsa_forward_progress 0
		.amdhsa_shared_vgpr_count 0
		.amdhsa_exception_fp_ieee_invalid_op 0
		.amdhsa_exception_fp_denorm_src 0
		.amdhsa_exception_fp_ieee_div_zero 0
		.amdhsa_exception_fp_ieee_overflow 0
		.amdhsa_exception_fp_ieee_underflow 0
		.amdhsa_exception_fp_ieee_inexact 0
		.amdhsa_exception_int_div_zero 0
	.end_amdhsa_kernel
	.text
.Lfunc_end0:
	.size	fft_rtc_fwd_len425_factors_17_5_5_wgs_51_tpt_17_halfLds_sp_ip_CI_sbrr_dirReg, .Lfunc_end0-fft_rtc_fwd_len425_factors_17_5_5_wgs_51_tpt_17_halfLds_sp_ip_CI_sbrr_dirReg
                                        ; -- End function
	.section	.AMDGPU.csdata,"",@progbits
; Kernel info:
; codeLenInByte = 20372
; NumSgprs: 25
; NumVgprs: 119
; ScratchSize: 0
; MemoryBound: 0
; FloatMode: 240
; IeeeMode: 1
; LDSByteSize: 0 bytes/workgroup (compile time only)
; SGPRBlocks: 3
; VGPRBlocks: 14
; NumSGPRsForWavesPerEU: 25
; NumVGPRsForWavesPerEU: 119
; Occupancy: 8
; WaveLimiterHint : 1
; COMPUTE_PGM_RSRC2:SCRATCH_EN: 0
; COMPUTE_PGM_RSRC2:USER_SGPR: 6
; COMPUTE_PGM_RSRC2:TRAP_HANDLER: 0
; COMPUTE_PGM_RSRC2:TGID_X_EN: 1
; COMPUTE_PGM_RSRC2:TGID_Y_EN: 0
; COMPUTE_PGM_RSRC2:TGID_Z_EN: 0
; COMPUTE_PGM_RSRC2:TIDIG_COMP_CNT: 0
	.text
	.p2alignl 6, 3214868480
	.fill 48, 4, 3214868480
	.type	__hip_cuid_b1cbbd4350b6075f,@object ; @__hip_cuid_b1cbbd4350b6075f
	.section	.bss,"aw",@nobits
	.globl	__hip_cuid_b1cbbd4350b6075f
__hip_cuid_b1cbbd4350b6075f:
	.byte	0                               ; 0x0
	.size	__hip_cuid_b1cbbd4350b6075f, 1

	.ident	"AMD clang version 19.0.0git (https://github.com/RadeonOpenCompute/llvm-project roc-6.4.0 25133 c7fe45cf4b819c5991fe208aaa96edf142730f1d)"
	.section	".note.GNU-stack","",@progbits
	.addrsig
	.addrsig_sym __hip_cuid_b1cbbd4350b6075f
	.amdgpu_metadata
---
amdhsa.kernels:
  - .args:
      - .actual_access:  read_only
        .address_space:  global
        .offset:         0
        .size:           8
        .value_kind:     global_buffer
      - .offset:         8
        .size:           8
        .value_kind:     by_value
      - .actual_access:  read_only
        .address_space:  global
        .offset:         16
        .size:           8
        .value_kind:     global_buffer
      - .actual_access:  read_only
        .address_space:  global
        .offset:         24
        .size:           8
        .value_kind:     global_buffer
      - .offset:         32
        .size:           8
        .value_kind:     by_value
      - .actual_access:  read_only
        .address_space:  global
        .offset:         40
        .size:           8
        .value_kind:     global_buffer
      - .actual_access:  read_only
        .address_space:  global
        .offset:         48
        .size:           8
        .value_kind:     global_buffer
      - .offset:         56
        .size:           4
        .value_kind:     by_value
      - .actual_access:  read_only
        .address_space:  global
        .offset:         64
        .size:           8
        .value_kind:     global_buffer
      - .actual_access:  read_only
        .address_space:  global
        .offset:         72
        .size:           8
        .value_kind:     global_buffer
      - .address_space:  global
        .offset:         80
        .size:           8
        .value_kind:     global_buffer
    .group_segment_fixed_size: 0
    .kernarg_segment_align: 8
    .kernarg_segment_size: 88
    .language:       OpenCL C
    .language_version:
      - 2
      - 0
    .max_flat_workgroup_size: 51
    .name:           fft_rtc_fwd_len425_factors_17_5_5_wgs_51_tpt_17_halfLds_sp_ip_CI_sbrr_dirReg
    .private_segment_fixed_size: 0
    .sgpr_count:     25
    .sgpr_spill_count: 0
    .symbol:         fft_rtc_fwd_len425_factors_17_5_5_wgs_51_tpt_17_halfLds_sp_ip_CI_sbrr_dirReg.kd
    .uniform_work_group_size: 1
    .uses_dynamic_stack: false
    .vgpr_count:     119
    .vgpr_spill_count: 0
    .wavefront_size: 32
    .workgroup_processor_mode: 1
amdhsa.target:   amdgcn-amd-amdhsa--gfx1030
amdhsa.version:
  - 1
  - 2
...

	.end_amdgpu_metadata
